;; amdgpu-corpus repo=triton-lang/triton kind=triton arch=gfx1100 opt=O3 lang=triton
	.amdgcn_target "amdgcn-amd-amdhsa--gfx1100"
	.amdhsa_code_object_version 5
	.text
	.globl	matmul_kernel_persistent        ; -- Begin function matmul_kernel_persistent
	.p2align	8
	.type	matmul_kernel_persistent,@function
matmul_kernel_persistent:               ; @matmul_kernel_persistent
.Lfunc_begin0:
	.file	1 "/root/src/amdgpu-assembly/repos/triton-lang__triton-aot" "persistent_matmul.py"
	.loc	1 19 0                          ; persistent_matmul.py:19:0
	.cfi_sections .debug_frame
	.cfi_startproc
; %bb.0:
	s_load_b128 s[20:23], s[0:1], 0x10
.Ltmp0:
	.loc	1 40 35 prologue_end            ; persistent_matmul.py:40:35
	v_and_b32_e32 v1, 32, v0
	s_clause 0x1
	s_load_b32 s36, s[0:1], 0x20
	s_load_b64 s[18:19], s[0:1], 0x34
	v_lshrrev_b32_e32 v2, 4, v0
	v_and_b32_e32 v3, 0xc0, v0
	v_lshrrev_b32_e32 v4, 1, v1
	s_delay_alu instid0(VALU_DEP_1) | instskip(SKIP_1) | instid1(VALU_DEP_4)
	v_and_or_b32 v97, v2, 1, v4
	.loc	1 47 41                         ; persistent_matmul.py:47:41
	v_and_b32_e32 v2, 15, v0
	v_lshrrev_b32_e32 v4, 2, v3
	s_delay_alu instid0(VALU_DEP_3) | instskip(SKIP_1) | instid1(VALU_DEP_3)
	.loc	1 40 35                         ; persistent_matmul.py:40:35
	v_or_b32_e32 v98, 2, v97
	v_or_b32_e32 v99, 4, v97
	.loc	1 47 41                         ; persistent_matmul.py:47:41
	v_or_b32_e32 v109, v4, v2
	.loc	1 40 35                         ; persistent_matmul.py:40:35
	v_or_b32_e32 v100, 6, v97
.Ltmp1:
	.file	2 "/root/.local/lib/python3.13/site-packages/triton/language" "standard.py"
	.loc	2 43 17                         ; standard.py:43:17 @[ persistent_matmul.py:31:27 ]
	s_waitcnt lgkmcnt(0)
	s_add_i32 s2, s22, 0x7f
.Ltmp2:
	.loc	2 43 17 is_stmt 0               ; standard.py:43:17 @[ persistent_matmul.py:32:27 ]
	s_add_i32 s3, s23, 63
.Ltmp3:
	.loc	2 43 30                         ; standard.py:43:30 @[ persistent_matmul.py:31:27 ]
	s_ashr_i32 s4, s2, 31
.Ltmp4:
	.loc	2 43 30                         ; standard.py:43:30 @[ persistent_matmul.py:32:27 ]
	s_ashr_i32 s5, s3, 31
.Ltmp5:
	.loc	2 43 30                         ; standard.py:43:30 @[ persistent_matmul.py:31:27 ]
	s_lshr_b32 s4, s4, 25
.Ltmp6:
	.loc	2 43 30                         ; standard.py:43:30 @[ persistent_matmul.py:32:27 ]
	s_lshr_b32 s5, s5, 26
.Ltmp7:
	.loc	2 43 30                         ; standard.py:43:30 @[ persistent_matmul.py:31:27 ]
	s_add_i32 s2, s2, s4
.Ltmp8:
	.loc	2 43 30                         ; standard.py:43:30 @[ persistent_matmul.py:32:27 ]
	s_add_i32 s3, s3, s5
.Ltmp9:
	.loc	1 40 35 is_stmt 1               ; persistent_matmul.py:40:35
	v_or_b32_e32 v101, 8, v97
	v_or_b32_e32 v102, 10, v97
	;; [unrolled: 1-line block ×5, first 2 shown]
.Ltmp10:
	.loc	2 43 30                         ; standard.py:43:30 @[ persistent_matmul.py:31:27 ]
	s_ashr_i32 s33, s2, 7
.Ltmp11:
	.loc	2 43 30 is_stmt 0               ; standard.py:43:30 @[ persistent_matmul.py:32:27 ]
	s_ashr_i32 s2, s3, 6
.Ltmp12:
	.loc	1 40 35 is_stmt 1               ; persistent_matmul.py:40:35
	v_or_b32_e32 v106, 34, v97
	v_or_b32_e32 v107, 36, v97
	;; [unrolled: 1-line block ×7, first 2 shown]
	.loc	1 47 41                         ; persistent_matmul.py:47:41
	v_or_b32_e32 v114, 64, v109
	.loc	1 55 24                         ; persistent_matmul.py:55:24
	s_add_i32 s3, s36, 0x7e
	.loc	1 41 38                         ; persistent_matmul.py:41:38
	s_lshl_b32 s35, s2, 2
	.loc	1 34 28                         ; persistent_matmul.py:34:28
	s_mul_i32 s34, s2, s33
	.loc	1 55 24                         ; persistent_matmul.py:55:24
	s_cmpk_gt_u32 s3, 0x7e
	s_mov_b32 s2, -1
	s_cbranch_scc0 .LBB0_169
; %bb.1:
	.loc	1 43 59                         ; persistent_matmul.py:43:59
	s_sub_i32 s2, s34, s15
.Ltmp13:
	.loc	2 43 17 is_stmt 0               ; standard.py:43:17 @[ persistent_matmul.py:33:25 ]
	s_add_i32 s3, s36, 63
.Ltmp14:
	.loc	1 43 59                         ; persistent_matmul.py:43:59
	s_mul_hi_i32 s4, s2, 0x6bca1af3
.Ltmp15:
	.loc	2 43 30                         ; standard.py:43:30 @[ persistent_matmul.py:33:25 ]
	s_ashr_i32 s5, s3, 31
.Ltmp16:
	.loc	1 43 59                         ; persistent_matmul.py:43:59
	s_lshr_b32 s6, s4, 31
	s_ashr_i32 s4, s4, 7
.Ltmp17:
	.loc	2 43 30                         ; standard.py:43:30 @[ persistent_matmul.py:33:25 ]
	s_lshr_b32 s5, s5, 26
.Ltmp18:
	.loc	1 43 59                         ; persistent_matmul.py:43:59
	s_add_i32 s7, s4, s6
.Ltmp19:
	.loc	2 43 30                         ; standard.py:43:30 @[ persistent_matmul.py:33:25 ]
	s_add_i32 s3, s3, s5
.Ltmp20:
	.loc	1 43 59                         ; persistent_matmul.py:43:59
	s_mulk_i32 s7, 0x130
.Ltmp21:
	.loc	2 43 30                         ; standard.py:43:30 @[ persistent_matmul.py:33:25 ]
	s_ashr_i32 s3, s3, 6
.Ltmp22:
	.loc	1 43 59                         ; persistent_matmul.py:43:59
	s_cmp_lg_u32 s2, s7
	s_cselect_b32 s5, -1, 0
	s_cmp_gt_i32 s2, -1
	s_cselect_b32 s2, -1, 0
	s_delay_alu instid0(SALU_CYCLE_1) | instskip(SKIP_2) | instid1(SALU_CYCLE_1)
	s_and_b32 s2, s2, s5
	s_addc_u32 s2, s4, s6
	s_max_i32 s38, s3, 1
	s_mul_i32 s37, s2, s38
	s_delay_alu instid0(SALU_CYCLE_1)
	s_cmp_lt_i32 s37, 1
	s_cbranch_scc1 .LBB0_168
; %bb.2:                                ; %.lr.ph
	.loc	1 0 59                          ; persistent_matmul.py:0:59
	s_abs_i32 s40, s35
	v_dual_mov_b32 v149, 0 :: v_dual_and_b32 v116, 63, v0
	v_lshlrev_b32_e32 v5, 4, v0
	v_dual_mov_b32 v148, 0 :: v_dual_lshlrev_b32 v127, 1, v0
	v_cvt_f32_u32_e32 v0, s40
	.loc	1 40 35 is_stmt 1               ; persistent_matmul.py:40:35
	v_lshrrev_b32_e32 v115, 6, v3
	s_clause 0x1
	s_load_b128 s[24:27], s[0:1], 0x0
	s_load_b128 s[28:31], s[0:1], 0x24
	v_dual_mov_b32 v151, 0 :: v_dual_lshlrev_b32 v6, 7, v2
	v_rcp_iflag_f32_e32 v0, v0
	v_lshlrev_b32_e32 v3, 5, v3
	v_xor_b32_e32 v130, v127, v4
	v_or_b32_e32 v11, 0x600, v127
	v_or_b32_e32 v12, 0xe00, v127
	;; [unrolled: 1-line block ×3, first 2 shown]
	s_sub_i32 s1, 0, s40
	v_or_b32_e32 v117, 4, v115
	v_or_b32_e32 v118, 8, v115
	;; [unrolled: 1-line block ×3, first 2 shown]
	v_mul_f32_e32 v0, 0x4f7ffffe, v0
	v_or_b32_e32 v120, 16, v115
	v_or_b32_e32 v121, 20, v115
	;; [unrolled: 1-line block ×4, first 2 shown]
	v_cvt_u32_f32_e32 v0, v0
	v_mov_b32_e32 v153, 0
	v_or_b32_e32 v124, 32, v115
	v_or_b32_e32 v125, 36, v115
	;; [unrolled: 1-line block ×3, first 2 shown]
	v_readfirstlane_b32 s0, v0
	v_add_nc_u32_e32 v0, 0, v1
	v_mov_b32_e32 v150, 0
	v_or_b32_e32 v1, 0x1e00, v127
	v_or_b32_e32 v128, 44, v115
	s_mul_i32 s1, s1, s0
	v_lshl_add_u32 v135, v2, 1, v0
	v_dual_mov_b32 v0, 0 :: v_dual_and_b32 v5, 0x70, v5
	v_or_b32_e32 v129, 48, v115
	v_or_b32_e32 v132, 52, v115
	v_or_b32_e32 v133, 56, v115
	v_or_b32_e32 v134, 60, v115
	v_or3_b32 v131, v3, v5, v6
	v_xor_b32_e32 v3, 64, v130
	v_dual_mov_b32 v163, 0 :: v_dual_add_nc_u32 v144, 0, v11
	v_dual_mov_b32 v160, 0 :: v_dual_add_nc_u32 v145, 0, v12
	s_delay_alu instid0(VALU_DEP_4)
	v_xor_b32_e32 v4, 16, v131
	v_xor_b32_e32 v5, 32, v131
	;; [unrolled: 1-line block ×7, first 2 shown]
	v_dual_mov_b32 v155, 0 :: v_dual_add_nc_u32 v136, 0, v3
	v_dual_mov_b32 v152, 0 :: v_dual_add_nc_u32 v137, 0, v4
	;; [unrolled: 1-line block ×10, first 2 shown]
	v_dual_mov_b32 v164, 0 :: v_dual_mov_b32 v167, 0
	v_dual_mov_b32 v166, 0 :: v_dual_mov_b32 v169, 0
	;; [unrolled: 1-line block ×11, first 2 shown]
	v_mov_b32_e32 v8, v0
	v_dual_mov_b32 v9, v0 :: v_dual_mov_b32 v32, 0
	v_mov_b32_e32 v10, v0
	v_dual_mov_b32 v11, v0 :: v_dual_mov_b32 v96, 0
	v_mov_b32_e32 v12, v0
	v_mov_b32_e32 v13, v0
	;; [unrolled: 1-line block ×20, first 2 shown]
	.loc	1 38 28                         ; persistent_matmul.py:38:28
	s_add_i32 s39, s15, 0xfffffed0
	s_mul_hi_u32 s1, s0, s1
	.loc	1 43 59                         ; persistent_matmul.py:43:59
	s_add_i32 s38, s38, -1
	s_mov_b32 s41, 0
	s_ashr_i32 s42, s35, 31
	s_add_i32 s43, s0, s1
	s_mov_b32 s44, s39
	s_branch .LBB0_5
.LBB0_3:                                ; %Flow
                                        ;   in Loop: Header=BB0_5 Depth=1
	.loc	1 0 59 is_stmt 0                ; persistent_matmul.py:0:59
	s_or_b32 exec_lo, exec_lo, s0
.LBB0_4:                                ;   in Loop: Header=BB0_5 Depth=1
	.loc	1 43 59 is_stmt 1               ; persistent_matmul.py:43:59
	s_add_i32 s0, s41, 1
	v_add_nc_u32_e32 v32, 1, v180
	v_cndmask_b32_e64 v0, v0, 0, s45
	v_cndmask_b32_e64 v1, v1, 0, s45
	v_cndmask_b32_e64 v2, v2, 0, s45
	v_cndmask_b32_e64 v3, v3, 0, s45
	v_cndmask_b32_e64 v4, v4, 0, s45
	v_cndmask_b32_e64 v5, v5, 0, s45
	v_cndmask_b32_e64 v6, v6, 0, s45
	v_cndmask_b32_e64 v7, v7, 0, s45
	v_cndmask_b32_e64 v8, v8, 0, s45
	v_cndmask_b32_e64 v9, v9, 0, s45
	v_cndmask_b32_e64 v10, v10, 0, s45
	v_cndmask_b32_e64 v11, v11, 0, s45
	v_cndmask_b32_e64 v12, v12, 0, s45
	v_cndmask_b32_e64 v13, v13, 0, s45
	v_cndmask_b32_e64 v14, v14, 0, s45
	v_cndmask_b32_e64 v15, v15, 0, s45
	v_cndmask_b32_e64 v16, v16, 0, s45
	v_cndmask_b32_e64 v17, v17, 0, s45
	v_cndmask_b32_e64 v18, v18, 0, s45
	v_cndmask_b32_e64 v19, v19, 0, s45
	v_cndmask_b32_e64 v20, v20, 0, s45
	v_cndmask_b32_e64 v21, v21, 0, s45
	v_cndmask_b32_e64 v22, v22, 0, s45
	v_cndmask_b32_e64 v23, v23, 0, s45
	v_cndmask_b32_e64 v24, v24, 0, s45
	v_cndmask_b32_e64 v25, v25, 0, s45
	v_cndmask_b32_e64 v26, v26, 0, s45
	v_cndmask_b32_e64 v27, v27, 0, s45
	v_cndmask_b32_e64 v28, v28, 0, s45
	v_cndmask_b32_e64 v29, v29, 0, s45
	v_cndmask_b32_e64 v30, v30, 0, s45
	v_cndmask_b32_e64 v31, v31, 0, s45
	s_and_b32 s1, s45, exec_lo
	s_cselect_b32 s41, 0, s0
	s_add_i32 s37, s37, -1
	s_delay_alu instid0(SALU_CYCLE_1)
	s_cmp_lg_u32 s37, 0
	s_cbranch_scc0 .LBB0_168
.LBB0_5:                                ; =>This Inner Loop Header: Depth=1
	s_cmp_eq_u32 s41, 0
	s_cselect_b32 s0, -1, 0
	s_cmp_lg_u32 s41, 0
	s_cbranch_scc1 .LBB0_7
; %bb.6:                                ;   in Loop: Header=BB0_5 Depth=1
	s_addk_i32 s44, 0x130
	s_delay_alu instid0(SALU_CYCLE_1)
.Ltmp23:
	.loc	1 10 26                         ; persistent_matmul.py:10:26 @[ persistent_matmul.py:44:88 ]
	s_abs_i32 s1, s44
	s_ashr_i32 s3, s44, 31
	s_mul_hi_u32 s2, s1, s43
	s_xor_b32 s5, s3, s42
	s_mul_i32 s4, s2, s40
	s_add_i32 s6, s2, 1
	s_sub_i32 s4, s1, s4
	s_delay_alu instid0(SALU_CYCLE_1)
	s_sub_i32 s7, s4, s40
	s_cmp_ge_u32 s4, s40
	s_cselect_b32 s2, s6, s2
	s_cselect_b32 s4, s7, s4
	s_add_i32 s6, s2, 1
	s_cmp_ge_u32 s4, s40
	s_cselect_b32 s2, s6, s2
	s_delay_alu instid0(SALU_CYCLE_1) | instskip(NEXT) | instid1(SALU_CYCLE_1)
	s_xor_b32 s2, s2, s5
	s_sub_i32 s2, s2, s5
	s_delay_alu instid0(SALU_CYCLE_1) | instskip(SKIP_2) | instid1(SALU_CYCLE_1)
	.loc	1 11 29                         ; persistent_matmul.py:11:29 @[ persistent_matmul.py:44:88 ]
	s_lshl_b32 s4, s2, 2
	.loc	1 14 23                         ; persistent_matmul.py:14:23 @[ persistent_matmul.py:44:88 ]
	s_mul_i32 s2, s2, s35
	.loc	1 12 35                         ; persistent_matmul.py:12:35 @[ persistent_matmul.py:44:88 ]
	s_sub_i32 s5, s33, s4
	.loc	1 12 48 is_stmt 0               ; persistent_matmul.py:12:48 @[ persistent_matmul.py:44:88 ]
	s_min_i32 s5, s5, 4
	s_delay_alu instid0(SALU_CYCLE_1) | instskip(NEXT) | instid1(SALU_CYCLE_1)
	.loc	1 13 37 is_stmt 1               ; persistent_matmul.py:13:37 @[ persistent_matmul.py:44:88 ]
	s_abs_i32 s6, s5
	v_cvt_f32_u32_e32 v33, s6
	s_sub_i32 s8, 0, s6
	s_delay_alu instid0(VALU_DEP_1) | instskip(SKIP_2) | instid1(VALU_DEP_1)
	v_rcp_iflag_f32_e32 v33, v33
	s_waitcnt_depctr depctr_va_vdst(0)
	v_mul_f32_e32 v33, 0x4f7ffffe, v33
	v_cvt_u32_f32_e32 v33, v33
	s_delay_alu instid0(VALU_DEP_1) | instskip(SKIP_1) | instid1(SALU_CYCLE_1)
	v_readfirstlane_b32 s7, v33
	s_mul_i32 s8, s8, s7
	s_mul_hi_u32 s8, s7, s8
	s_delay_alu instid0(SALU_CYCLE_1) | instskip(NEXT) | instid1(SALU_CYCLE_1)
	s_add_i32 s7, s7, s8
	s_mul_hi_u32 s8, s1, s7
	s_delay_alu instid0(SALU_CYCLE_1) | instskip(NEXT) | instid1(SALU_CYCLE_1)
	s_mul_i32 s8, s8, s6
	s_sub_i32 s1, s1, s8
	s_delay_alu instid0(SALU_CYCLE_1) | instskip(SKIP_2) | instid1(SALU_CYCLE_1)
	s_sub_i32 s8, s1, s6
	s_cmp_ge_u32 s1, s6
	s_cselect_b32 s1, s8, s1
	s_sub_i32 s8, s1, s6
	s_cmp_ge_u32 s1, s6
	s_cselect_b32 s1, s8, s1
	.loc	1 14 23                         ; persistent_matmul.py:14:23 @[ persistent_matmul.py:44:88 ]
	s_sub_i32 s2, s44, s2
	.loc	1 13 37                         ; persistent_matmul.py:13:37 @[ persistent_matmul.py:44:88 ]
	s_xor_b32 s1, s1, s3
	.loc	1 14 44                         ; persistent_matmul.py:14:44 @[ persistent_matmul.py:44:88 ]
	s_xor_b32 s5, s2, s5
	s_abs_i32 s2, s2
	.loc	1 13 37                         ; persistent_matmul.py:13:37 @[ persistent_matmul.py:44:88 ]
	s_sub_i32 s1, s1, s3
	.loc	1 14 44                         ; persistent_matmul.py:14:44 @[ persistent_matmul.py:44:88 ]
	s_mul_hi_u32 s3, s2, s7
	.loc	1 13 27                         ; persistent_matmul.py:13:27 @[ persistent_matmul.py:44:88 ]
	s_add_i32 s4, s4, s1
	.loc	1 14 44                         ; persistent_matmul.py:14:44 @[ persistent_matmul.py:44:88 ]
	s_mul_i32 s7, s3, s6
	s_ashr_i32 s5, s5, 31
	s_sub_i32 s1, s2, s7
	s_add_i32 s2, s3, 1
	s_sub_i32 s7, s1, s6
	s_cmp_ge_u32 s1, s6
	s_cselect_b32 s2, s2, s3
	s_cselect_b32 s1, s7, s1
	s_add_i32 s3, s2, 1
	s_cmp_ge_u32 s1, s6
	s_cselect_b32 s1, s3, s2
.Ltmp24:
	.loc	1 45 26                         ; persistent_matmul.py:45:26
	s_lshl_b32 s2, s4, 7
.Ltmp25:
	.loc	1 14 44                         ; persistent_matmul.py:14:44 @[ persistent_matmul.py:44:88 ]
	s_xor_b32 s1, s1, s5
.Ltmp26:
	.loc	1 47 28                         ; persistent_matmul.py:47:28
	v_or_b32_e32 v33, s2, v115
	v_or_b32_e32 v34, s2, v117
	;; [unrolled: 1-line block ×5, first 2 shown]
	.loc	1 49 37                         ; persistent_matmul.py:49:37
	v_cmp_gt_i32_e32 vcc_lo, s22, v33
	.loc	1 47 28                         ; persistent_matmul.py:47:28
	v_or_b32_e32 v50, 64, v33
	v_or_b32_e32 v51, 0x44, v33
	;; [unrolled: 1-line block ×16, first 2 shown]
	.loc	1 49 49                         ; persistent_matmul.py:49:49
	v_cndmask_b32_e32 v33, 0, v33, vcc_lo
	.loc	1 49 37 is_stmt 0               ; persistent_matmul.py:49:37
	v_cmp_gt_i32_e32 vcc_lo, s22, v34
	.loc	1 47 28 is_stmt 1               ; persistent_matmul.py:47:28
	v_or_b32_e32 v38, s2, v121
	v_or_b32_e32 v39, s2, v122
	v_or_b32_e32 v40, s2, v123
	v_or_b32_e32 v41, s2, v124
	.loc	1 49 49                         ; persistent_matmul.py:49:49
	v_cndmask_b32_e32 v34, 0, v34, vcc_lo
	.loc	1 49 37 is_stmt 0               ; persistent_matmul.py:49:37
	v_cmp_gt_i32_e32 vcc_lo, s22, v35
	.loc	1 47 28 is_stmt 1               ; persistent_matmul.py:47:28
	v_or_b32_e32 v42, s2, v125
	v_or_b32_e32 v43, s2, v126
	;; [unrolled: 1-line block ×4, first 2 shown]
	.loc	1 49 49                         ; persistent_matmul.py:49:49
	v_cndmask_b32_e32 v35, 0, v35, vcc_lo
	.loc	1 49 37 is_stmt 0               ; persistent_matmul.py:49:37
	v_cmp_gt_i32_e32 vcc_lo, s22, v36
	.loc	1 47 28 is_stmt 1               ; persistent_matmul.py:47:28
	v_or_b32_e32 v46, s2, v132
	v_or_b32_e32 v47, s2, v133
	;; [unrolled: 1-line block ×3, first 2 shown]
.Ltmp27:
	.loc	1 14 44                         ; persistent_matmul.py:14:44 @[ persistent_matmul.py:44:88 ]
	s_sub_i32 s1, s1, s5
.Ltmp28:
	.loc	1 49 49                         ; persistent_matmul.py:49:49
	v_cndmask_b32_e32 v36, 0, v36, vcc_lo
	.loc	1 49 37 is_stmt 0               ; persistent_matmul.py:49:37
	v_cmp_gt_i32_e32 vcc_lo, s22, v37
	.loc	1 48 28 is_stmt 1               ; persistent_matmul.py:48:28
	v_lshl_or_b32 v49, s1, 6, v116
	.loc	1 57 49                         ; persistent_matmul.py:57:49
	s_waitcnt lgkmcnt(0)
	v_mul_lo_u32 v148, v33, s28
	v_mul_lo_u32 v149, v34, s28
	;; [unrolled: 1-line block ×3, first 2 shown]
	.loc	1 49 49                         ; persistent_matmul.py:49:49
	v_cndmask_b32_e32 v37, 0, v37, vcc_lo
	.loc	1 49 37 is_stmt 0               ; persistent_matmul.py:49:37
	v_cmp_gt_i32_e32 vcc_lo, s22, v38
	.loc	1 49 49                         ; persistent_matmul.py:49:49
	v_cndmask_b32_e32 v38, 0, v38, vcc_lo
	.loc	1 49 37                         ; persistent_matmul.py:49:37
	v_cmp_gt_i32_e32 vcc_lo, s22, v39
	.loc	1 57 49 is_stmt 1               ; persistent_matmul.py:57:49
	v_mul_lo_u32 v150, v35, s28
	s_delay_alu instid0(VALU_DEP_3)
	v_mul_lo_u32 v153, v38, s28
	.loc	1 49 49                         ; persistent_matmul.py:49:49
	v_cndmask_b32_e32 v39, 0, v39, vcc_lo
	.loc	1 49 37 is_stmt 0               ; persistent_matmul.py:49:37
	v_cmp_gt_i32_e32 vcc_lo, s22, v40
	.loc	1 49 49                         ; persistent_matmul.py:49:49
	v_cndmask_b32_e32 v40, 0, v40, vcc_lo
	.loc	1 49 37                         ; persistent_matmul.py:49:37
	v_cmp_gt_i32_e32 vcc_lo, s22, v41
	.loc	1 57 49 is_stmt 1               ; persistent_matmul.py:57:49
	v_mul_lo_u32 v152, v37, s28
	s_delay_alu instid0(VALU_DEP_3)
	v_mul_lo_u32 v155, v40, s28
	;; [unrolled: 12-line block ×5, first 2 shown]
	.loc	1 49 49                         ; persistent_matmul.py:49:49
	v_cndmask_b32_e32 v47, 0, v47, vcc_lo
	.loc	1 49 37 is_stmt 0               ; persistent_matmul.py:49:37
	v_cmp_gt_i32_e32 vcc_lo, s22, v48
	.loc	1 49 49                         ; persistent_matmul.py:49:49
	v_cndmask_b32_e32 v48, 0, v48, vcc_lo
	.loc	1 49 37                         ; persistent_matmul.py:49:37
	v_cmp_gt_i32_e32 vcc_lo, s22, v50
	.loc	1 57 49 is_stmt 1               ; persistent_matmul.py:57:49
	v_mul_lo_u32 v160, v45, s28
	s_delay_alu instid0(VALU_DEP_3) | instskip(SKIP_3) | instid1(VALU_DEP_3)
	v_mul_lo_u32 v163, v48, s28
	.loc	1 49 49                         ; persistent_matmul.py:49:49
	v_cndmask_b32_e32 v50, 0, v50, vcc_lo
	.loc	1 49 37 is_stmt 0               ; persistent_matmul.py:49:37
	v_cmp_gt_i32_e32 vcc_lo, s22, v51
	.loc	1 57 49 is_stmt 1               ; persistent_matmul.py:57:49
	v_mul_lo_u32 v162, v47, s28
	v_mul_lo_u32 v164, v50, s28
	.loc	1 49 49                         ; persistent_matmul.py:49:49
	v_cndmask_b32_e32 v51, 0, v51, vcc_lo
	.loc	1 49 37 is_stmt 0               ; persistent_matmul.py:49:37
	v_cmp_gt_i32_e32 vcc_lo, s22, v52
	.loc	1 49 49                         ; persistent_matmul.py:49:49
	v_cndmask_b32_e32 v52, 0, v52, vcc_lo
	.loc	1 49 37                         ; persistent_matmul.py:49:37
	v_cmp_gt_i32_e32 vcc_lo, s22, v53
	s_delay_alu instid0(VALU_DEP_4) | instskip(NEXT) | instid1(VALU_DEP_3)
	.loc	1 57 49 is_stmt 1               ; persistent_matmul.py:57:49
	v_mul_lo_u32 v165, v51, s28
	v_mul_lo_u32 v166, v52, s28
	.loc	1 49 49                         ; persistent_matmul.py:49:49
	v_cndmask_b32_e32 v53, 0, v53, vcc_lo
	.loc	1 49 37 is_stmt 0               ; persistent_matmul.py:49:37
	v_cmp_gt_i32_e32 vcc_lo, s22, v54
	.loc	1 49 49                         ; persistent_matmul.py:49:49
	v_cndmask_b32_e32 v54, 0, v54, vcc_lo
	.loc	1 49 37                         ; persistent_matmul.py:49:37
	v_cmp_gt_i32_e32 vcc_lo, s22, v55
	s_delay_alu instid0(VALU_DEP_4) | instskip(NEXT) | instid1(VALU_DEP_3)
	;; [unrolled: 12-line block ×7, first 2 shown]
	.loc	1 57 49 is_stmt 1               ; persistent_matmul.py:57:49
	v_mul_lo_u32 v177, v63, s28
	v_mul_lo_u32 v178, v64, s28
	.loc	1 49 49                         ; persistent_matmul.py:49:49
	v_cndmask_b32_e32 v65, 0, v65, vcc_lo
	.loc	1 50 37                         ; persistent_matmul.py:50:37
	v_cmp_gt_i32_e32 vcc_lo, s23, v49
	s_delay_alu instid0(VALU_DEP_2) | instskip(SKIP_1) | instid1(VALU_DEP_1)
	.loc	1 57 49                         ; persistent_matmul.py:57:49
	v_mul_lo_u32 v179, v65, s28
	.loc	1 50 49                         ; persistent_matmul.py:50:49
	v_cndmask_b32_e32 v49, 0, v49, vcc_lo
	.loc	1 58 79                         ; persistent_matmul.py:58:79
	v_mul_lo_u32 v96, v49, s31
.LBB0_7:                                ;   in Loop: Header=BB0_5 Depth=1
	.loc	1 43 59                         ; persistent_matmul.py:43:59
	v_cndmask_b32_e64 v180, v32, 0, s0
	s_delay_alu instid0(VALU_DEP_1) | instskip(NEXT) | instid1(VALU_DEP_1)
	v_dual_mov_b32 v33, 0 :: v_dual_lshlrev_b32 v34, 6, v180
	.loc	1 56 41                         ; persistent_matmul.py:56:41
	v_or_b32_e32 v32, v34, v116
	.loc	1 60 68                         ; persistent_matmul.py:60:68
	v_sub_nc_u32_e32 v35, s36, v34
	.loc	1 57 79                         ; persistent_matmul.py:57:79
	s_waitcnt lgkmcnt(0)
	s_delay_alu instid0(VALU_DEP_2) | instskip(NEXT) | instid1(VALU_DEP_2)
	v_mul_lo_u32 v55, v32, s29
	.loc	1 60 64                         ; persistent_matmul.py:60:64
	v_cmp_lt_i32_e32 vcc_lo, v116, v35
	v_mov_b32_e32 v32, 0
	.loc	1 60 24 is_stmt 0               ; persistent_matmul.py:60:24
	s_and_saveexec_b32 s1, vcc_lo
	s_cbranch_execz .LBB0_9
; %bb.8:                                ;   in Loop: Header=BB0_5 Depth=1
	.loc	1 0 24                          ; persistent_matmul.py:0:24
	s_delay_alu instid0(VALU_DEP_3) | instskip(NEXT) | instid1(VALU_DEP_1)
	v_add_nc_u32_e32 v36, v148, v55
	v_ashrrev_i32_e32 v37, 31, v36
	s_delay_alu instid0(VALU_DEP_1) | instskip(NEXT) | instid1(VALU_DEP_1)
	v_lshlrev_b64 v[36:37], 1, v[36:37]
	v_add_co_u32 v36, s0, s24, v36
	s_delay_alu instid0(VALU_DEP_1)
	v_add_co_ci_u32_e64 v37, null, s25, v37, s0
	.loc	1 60 24                         ; persistent_matmul.py:60:24
	global_load_u16 v33, v[36:37], off
.LBB0_9:                                ;   in Loop: Header=BB0_5 Depth=1
	.loc	1 0 24                          ; persistent_matmul.py:0:24
	s_or_b32 exec_lo, exec_lo, s1
	.loc	1 60 24                         ; persistent_matmul.py:60:24
	s_and_saveexec_b32 s1, vcc_lo
	s_cbranch_execz .LBB0_11
; %bb.10:                               ;   in Loop: Header=BB0_5 Depth=1
	.loc	1 57 61 is_stmt 1               ; persistent_matmul.py:57:61
	v_add_nc_u32_e32 v36, v149, v55
	s_delay_alu instid0(VALU_DEP_1) | instskip(NEXT) | instid1(VALU_DEP_1)
	.loc	1 57 30 is_stmt 0               ; persistent_matmul.py:57:30
	v_ashrrev_i32_e32 v37, 31, v36
	v_lshlrev_b64 v[36:37], 1, v[36:37]
	s_delay_alu instid0(VALU_DEP_1) | instskip(NEXT) | instid1(VALU_DEP_1)
	v_add_co_u32 v36, s0, s24, v36
	v_add_co_ci_u32_e64 v37, null, s25, v37, s0
	.loc	1 60 24 is_stmt 1               ; persistent_matmul.py:60:24
	global_load_u16 v32, v[36:37], off
.LBB0_11:                               ;   in Loop: Header=BB0_5 Depth=1
	.loc	1 0 24 is_stmt 0                ; persistent_matmul.py:0:24
	s_or_b32 exec_lo, exec_lo, s1
	v_dual_mov_b32 v36, 0 :: v_dual_mov_b32 v37, 0
	.loc	1 60 24                         ; persistent_matmul.py:60:24
	s_and_saveexec_b32 s1, vcc_lo
	s_cbranch_execz .LBB0_13
; %bb.12:                               ;   in Loop: Header=BB0_5 Depth=1
	.loc	1 57 61 is_stmt 1               ; persistent_matmul.py:57:61
	v_add_nc_u32_e32 v37, v150, v55
	s_delay_alu instid0(VALU_DEP_1) | instskip(NEXT) | instid1(VALU_DEP_1)
	.loc	1 57 30 is_stmt 0               ; persistent_matmul.py:57:30
	v_ashrrev_i32_e32 v38, 31, v37
	v_lshlrev_b64 v[37:38], 1, v[37:38]
	s_delay_alu instid0(VALU_DEP_1) | instskip(NEXT) | instid1(VALU_DEP_1)
	v_add_co_u32 v37, s0, s24, v37
	v_add_co_ci_u32_e64 v38, null, s25, v38, s0
	.loc	1 60 24 is_stmt 1               ; persistent_matmul.py:60:24
	global_load_u16 v37, v[37:38], off
.LBB0_13:                               ;   in Loop: Header=BB0_5 Depth=1
	.loc	1 0 24 is_stmt 0                ; persistent_matmul.py:0:24
	s_or_b32 exec_lo, exec_lo, s1
	.loc	1 60 24                         ; persistent_matmul.py:60:24
	s_and_saveexec_b32 s1, vcc_lo
	s_cbranch_execz .LBB0_15
; %bb.14:                               ;   in Loop: Header=BB0_5 Depth=1
	.loc	1 57 61 is_stmt 1               ; persistent_matmul.py:57:61
	v_add_nc_u32_e32 v38, v151, v55
	s_delay_alu instid0(VALU_DEP_1) | instskip(NEXT) | instid1(VALU_DEP_1)
	.loc	1 57 30 is_stmt 0               ; persistent_matmul.py:57:30
	v_ashrrev_i32_e32 v39, 31, v38
	v_lshlrev_b64 v[38:39], 1, v[38:39]
	s_delay_alu instid0(VALU_DEP_1) | instskip(NEXT) | instid1(VALU_DEP_1)
	v_add_co_u32 v38, s0, s24, v38
	v_add_co_ci_u32_e64 v39, null, s25, v39, s0
	.loc	1 60 24 is_stmt 1               ; persistent_matmul.py:60:24
	global_load_u16 v36, v[38:39], off
.LBB0_15:                               ;   in Loop: Header=BB0_5 Depth=1
	.loc	1 0 24 is_stmt 0                ; persistent_matmul.py:0:24
	s_or_b32 exec_lo, exec_lo, s1
	v_dual_mov_b32 v38, 0 :: v_dual_mov_b32 v39, 0
	.loc	1 60 24                         ; persistent_matmul.py:60:24
	s_and_saveexec_b32 s1, vcc_lo
	s_cbranch_execz .LBB0_17
; %bb.16:                               ;   in Loop: Header=BB0_5 Depth=1
	.loc	1 57 61 is_stmt 1               ; persistent_matmul.py:57:61
	v_add_nc_u32_e32 v39, v152, v55
	s_delay_alu instid0(VALU_DEP_1) | instskip(NEXT) | instid1(VALU_DEP_1)
	.loc	1 57 30 is_stmt 0               ; persistent_matmul.py:57:30
	v_ashrrev_i32_e32 v40, 31, v39
	v_lshlrev_b64 v[39:40], 1, v[39:40]
	s_delay_alu instid0(VALU_DEP_1) | instskip(NEXT) | instid1(VALU_DEP_1)
	v_add_co_u32 v39, s0, s24, v39
	v_add_co_ci_u32_e64 v40, null, s25, v40, s0
	.loc	1 60 24 is_stmt 1               ; persistent_matmul.py:60:24
	global_load_u16 v39, v[39:40], off
.LBB0_17:                               ;   in Loop: Header=BB0_5 Depth=1
	.loc	1 0 24 is_stmt 0                ; persistent_matmul.py:0:24
	;; [unrolled: 37-line block ×9, first 2 shown]
	s_or_b32 exec_lo, exec_lo, s1
	.loc	1 60 24                         ; persistent_matmul.py:60:24
	s_and_saveexec_b32 s1, vcc_lo
	s_cbranch_execz .LBB0_47
; %bb.46:                               ;   in Loop: Header=BB0_5 Depth=1
	.loc	1 57 61 is_stmt 1               ; persistent_matmul.py:57:61
	v_add_nc_u32_e32 v56, v167, v55
	s_delay_alu instid0(VALU_DEP_1) | instskip(NEXT) | instid1(VALU_DEP_1)
	.loc	1 57 30 is_stmt 0               ; persistent_matmul.py:57:30
	v_ashrrev_i32_e32 v57, 31, v56
	v_lshlrev_b64 v[56:57], 1, v[56:57]
	s_delay_alu instid0(VALU_DEP_1) | instskip(NEXT) | instid1(VALU_DEP_1)
	v_add_co_u32 v56, s0, s24, v56
	v_add_co_ci_u32_e64 v57, null, s25, v57, s0
	.loc	1 60 24 is_stmt 1               ; persistent_matmul.py:60:24
	global_load_u16 v52, v[56:57], off
.LBB0_47:                               ;   in Loop: Header=BB0_5 Depth=1
	.loc	1 0 24 is_stmt 0                ; persistent_matmul.py:0:24
	s_or_b32 exec_lo, exec_lo, s1
	v_mov_b32_e32 v54, 0
	v_mov_b32_e32 v56, 0
	.loc	1 60 24                         ; persistent_matmul.py:60:24
	s_and_saveexec_b32 s1, vcc_lo
	s_cbranch_execz .LBB0_49
; %bb.48:                               ;   in Loop: Header=BB0_5 Depth=1
	.loc	1 57 61 is_stmt 1               ; persistent_matmul.py:57:61
	v_add_nc_u32_e32 v56, v168, v55
	s_delay_alu instid0(VALU_DEP_1) | instskip(NEXT) | instid1(VALU_DEP_1)
	.loc	1 57 30 is_stmt 0               ; persistent_matmul.py:57:30
	v_ashrrev_i32_e32 v57, 31, v56
	v_lshlrev_b64 v[56:57], 1, v[56:57]
	s_delay_alu instid0(VALU_DEP_1) | instskip(NEXT) | instid1(VALU_DEP_1)
	v_add_co_u32 v56, s0, s24, v56
	v_add_co_ci_u32_e64 v57, null, s25, v57, s0
	.loc	1 60 24 is_stmt 1               ; persistent_matmul.py:60:24
	global_load_u16 v56, v[56:57], off
.LBB0_49:                               ;   in Loop: Header=BB0_5 Depth=1
	.loc	1 0 24 is_stmt 0                ; persistent_matmul.py:0:24
	s_or_b32 exec_lo, exec_lo, s1
	.loc	1 60 24                         ; persistent_matmul.py:60:24
	s_and_saveexec_b32 s1, vcc_lo
	s_cbranch_execz .LBB0_51
; %bb.50:                               ;   in Loop: Header=BB0_5 Depth=1
	.loc	1 57 61 is_stmt 1               ; persistent_matmul.py:57:61
	v_add_nc_u32_e32 v57, v169, v55
	s_delay_alu instid0(VALU_DEP_1) | instskip(NEXT) | instid1(VALU_DEP_1)
	.loc	1 57 30 is_stmt 0               ; persistent_matmul.py:57:30
	v_ashrrev_i32_e32 v58, 31, v57
	v_lshlrev_b64 v[57:58], 1, v[57:58]
	s_delay_alu instid0(VALU_DEP_1) | instskip(NEXT) | instid1(VALU_DEP_1)
	v_add_co_u32 v57, s0, s24, v57
	v_add_co_ci_u32_e64 v58, null, s25, v58, s0
	.loc	1 60 24 is_stmt 1               ; persistent_matmul.py:60:24
	global_load_u16 v54, v[57:58], off
.LBB0_51:                               ;   in Loop: Header=BB0_5 Depth=1
	.loc	1 0 24 is_stmt 0                ; persistent_matmul.py:0:24
	s_or_b32 exec_lo, exec_lo, s1
	v_dual_mov_b32 v57, 0 :: v_dual_mov_b32 v58, 0
	.loc	1 60 24                         ; persistent_matmul.py:60:24
	s_and_saveexec_b32 s1, vcc_lo
	s_cbranch_execz .LBB0_53
; %bb.52:                               ;   in Loop: Header=BB0_5 Depth=1
	.loc	1 57 61 is_stmt 1               ; persistent_matmul.py:57:61
	v_add_nc_u32_e32 v58, v170, v55
	s_delay_alu instid0(VALU_DEP_1) | instskip(NEXT) | instid1(VALU_DEP_1)
	.loc	1 57 30 is_stmt 0               ; persistent_matmul.py:57:30
	v_ashrrev_i32_e32 v59, 31, v58
	v_lshlrev_b64 v[58:59], 1, v[58:59]
	s_delay_alu instid0(VALU_DEP_1) | instskip(NEXT) | instid1(VALU_DEP_1)
	v_add_co_u32 v58, s0, s24, v58
	v_add_co_ci_u32_e64 v59, null, s25, v59, s0
	.loc	1 60 24 is_stmt 1               ; persistent_matmul.py:60:24
	global_load_u16 v58, v[58:59], off
.LBB0_53:                               ;   in Loop: Header=BB0_5 Depth=1
	.loc	1 0 24 is_stmt 0                ; persistent_matmul.py:0:24
	s_or_b32 exec_lo, exec_lo, s1
	.loc	1 60 24                         ; persistent_matmul.py:60:24
	s_and_saveexec_b32 s1, vcc_lo
	s_cbranch_execz .LBB0_55
; %bb.54:                               ;   in Loop: Header=BB0_5 Depth=1
	.loc	1 57 61 is_stmt 1               ; persistent_matmul.py:57:61
	v_add_nc_u32_e32 v59, v171, v55
	s_delay_alu instid0(VALU_DEP_1) | instskip(NEXT) | instid1(VALU_DEP_1)
	.loc	1 57 30 is_stmt 0               ; persistent_matmul.py:57:30
	v_ashrrev_i32_e32 v60, 31, v59
	v_lshlrev_b64 v[59:60], 1, v[59:60]
	s_delay_alu instid0(VALU_DEP_1) | instskip(NEXT) | instid1(VALU_DEP_1)
	v_add_co_u32 v59, s0, s24, v59
	v_add_co_ci_u32_e64 v60, null, s25, v60, s0
	.loc	1 60 24 is_stmt 1               ; persistent_matmul.py:60:24
	global_load_u16 v57, v[59:60], off
.LBB0_55:                               ;   in Loop: Header=BB0_5 Depth=1
	.loc	1 0 24 is_stmt 0                ; persistent_matmul.py:0:24
	s_or_b32 exec_lo, exec_lo, s1
	v_dual_mov_b32 v59, 0 :: v_dual_mov_b32 v60, 0
	;; [unrolled: 37-line block ×5, first 2 shown]
	.loc	1 60 24                         ; persistent_matmul.py:60:24
	s_and_saveexec_b32 s1, vcc_lo
	s_cbranch_execz .LBB0_69
; %bb.68:                               ;   in Loop: Header=BB0_5 Depth=1
	.loc	1 57 61 is_stmt 1               ; persistent_matmul.py:57:61
	v_add_nc_u32_e32 v66, v178, v55
	s_delay_alu instid0(VALU_DEP_1) | instskip(NEXT) | instid1(VALU_DEP_1)
	.loc	1 57 30 is_stmt 0               ; persistent_matmul.py:57:30
	v_ashrrev_i32_e32 v67, 31, v66
	v_lshlrev_b64 v[66:67], 1, v[66:67]
	s_delay_alu instid0(VALU_DEP_1) | instskip(NEXT) | instid1(VALU_DEP_1)
	v_add_co_u32 v66, s0, s24, v66
	v_add_co_ci_u32_e64 v67, null, s25, v67, s0
	.loc	1 60 24 is_stmt 1               ; persistent_matmul.py:60:24
	global_load_u16 v66, v[66:67], off
.LBB0_69:                               ;   in Loop: Header=BB0_5 Depth=1
	.loc	1 0 24 is_stmt 0                ; persistent_matmul.py:0:24
	s_or_b32 exec_lo, exec_lo, s1
	.loc	1 60 24                         ; persistent_matmul.py:60:24
	s_and_saveexec_b32 s0, vcc_lo
	s_cbranch_execz .LBB0_71
; %bb.70:                               ;   in Loop: Header=BB0_5 Depth=1
	.loc	1 57 61 is_stmt 1               ; persistent_matmul.py:57:61
	v_add_nc_u32_e32 v67, v179, v55
	s_delay_alu instid0(VALU_DEP_1) | instskip(NEXT) | instid1(VALU_DEP_1)
	.loc	1 57 30 is_stmt 0               ; persistent_matmul.py:57:30
	v_ashrrev_i32_e32 v68, 31, v67
	v_lshlrev_b64 v[67:68], 1, v[67:68]
	s_delay_alu instid0(VALU_DEP_1) | instskip(NEXT) | instid1(VALU_DEP_1)
	v_add_co_u32 v67, vcc_lo, s24, v67
	v_add_co_ci_u32_e64 v68, null, s25, v68, vcc_lo
	.loc	1 60 24 is_stmt 1               ; persistent_matmul.py:60:24
	global_load_u16 v65, v[67:68], off
.LBB0_71:                               ;   in Loop: Header=BB0_5 Depth=1
	.loc	1 0 24 is_stmt 0                ; persistent_matmul.py:0:24
	s_or_b32 exec_lo, exec_lo, s0
	v_dual_mov_b32 v181, 0 :: v_dual_mov_b32 v182, 0
	.loc	1 61 24 is_stmt 1               ; persistent_matmul.py:61:24
	s_mov_b32 s0, exec_lo
	.loc	1 61 64 is_stmt 0               ; persistent_matmul.py:61:64
	v_cmpx_lt_i32_e64 v115, v35
	.loc	1 61 24                         ; persistent_matmul.py:61:24
	s_cbranch_execz .LBB0_73
; %bb.72:                               ;   in Loop: Header=BB0_5 Depth=1
	.loc	1 56 41 is_stmt 1               ; persistent_matmul.py:56:41
	v_or_b32_e32 v55, v34, v115
	s_delay_alu instid0(VALU_DEP_1) | instskip(NEXT) | instid1(VALU_DEP_1)
	.loc	1 58 60                         ; persistent_matmul.py:58:60
	v_mad_u64_u32 v[67:68], null, v55, s30, v[96:97]
	.loc	1 58 30 is_stmt 0               ; persistent_matmul.py:58:30
	v_ashrrev_i32_e32 v68, 31, v67
	s_delay_alu instid0(VALU_DEP_1) | instskip(NEXT) | instid1(VALU_DEP_1)
	v_lshlrev_b64 v[67:68], 1, v[67:68]
	v_add_co_u32 v67, vcc_lo, s26, v67
	s_delay_alu instid0(VALU_DEP_1)
	v_add_co_ci_u32_e64 v68, null, s27, v68, vcc_lo
	.loc	1 61 24 is_stmt 1               ; persistent_matmul.py:61:24
	global_load_u16 v182, v[67:68], off
.LBB0_73:                               ;   in Loop: Header=BB0_5 Depth=1
	.loc	1 0 24 is_stmt 0                ; persistent_matmul.py:0:24
	s_or_b32 exec_lo, exec_lo, s0
	s_delay_alu instid0(SALU_CYCLE_1)
	.loc	1 61 24                         ; persistent_matmul.py:61:24
	s_mov_b32 s0, exec_lo
	.loc	1 61 64                         ; persistent_matmul.py:61:64
	v_cmpx_lt_i32_e64 v117, v35
	.loc	1 61 24                         ; persistent_matmul.py:61:24
	s_cbranch_execz .LBB0_75
; %bb.74:                               ;   in Loop: Header=BB0_5 Depth=1
	.loc	1 56 41 is_stmt 1               ; persistent_matmul.py:56:41
	v_or_b32_e32 v55, v34, v117
	s_delay_alu instid0(VALU_DEP_1) | instskip(NEXT) | instid1(VALU_DEP_1)
	.loc	1 58 60                         ; persistent_matmul.py:58:60
	v_mad_u64_u32 v[67:68], null, v55, s30, v[96:97]
	.loc	1 58 30 is_stmt 0               ; persistent_matmul.py:58:30
	v_ashrrev_i32_e32 v68, 31, v67
	s_delay_alu instid0(VALU_DEP_1) | instskip(NEXT) | instid1(VALU_DEP_1)
	v_lshlrev_b64 v[67:68], 1, v[67:68]
	v_add_co_u32 v67, vcc_lo, s26, v67
	s_delay_alu instid0(VALU_DEP_1)
	v_add_co_ci_u32_e64 v68, null, s27, v68, vcc_lo
	.loc	1 61 24 is_stmt 1               ; persistent_matmul.py:61:24
	global_load_u16 v181, v[67:68], off
.LBB0_75:                               ;   in Loop: Header=BB0_5 Depth=1
	.loc	1 0 24 is_stmt 0                ; persistent_matmul.py:0:24
	s_or_b32 exec_lo, exec_lo, s0
	v_dual_mov_b32 v183, 0 :: v_dual_mov_b32 v184, 0
	.loc	1 61 24                         ; persistent_matmul.py:61:24
	s_mov_b32 s0, exec_lo
	.loc	1 61 64                         ; persistent_matmul.py:61:64
	v_cmpx_lt_i32_e64 v118, v35
	.loc	1 61 24                         ; persistent_matmul.py:61:24
	s_cbranch_execz .LBB0_77
; %bb.76:                               ;   in Loop: Header=BB0_5 Depth=1
	.loc	1 56 41 is_stmt 1               ; persistent_matmul.py:56:41
	v_or_b32_e32 v55, v34, v118
	s_delay_alu instid0(VALU_DEP_1) | instskip(NEXT) | instid1(VALU_DEP_1)
	.loc	1 58 60                         ; persistent_matmul.py:58:60
	v_mad_u64_u32 v[67:68], null, v55, s30, v[96:97]
	.loc	1 58 30 is_stmt 0               ; persistent_matmul.py:58:30
	v_ashrrev_i32_e32 v68, 31, v67
	s_delay_alu instid0(VALU_DEP_1) | instskip(NEXT) | instid1(VALU_DEP_1)
	v_lshlrev_b64 v[67:68], 1, v[67:68]
	v_add_co_u32 v67, vcc_lo, s26, v67
	s_delay_alu instid0(VALU_DEP_1)
	v_add_co_ci_u32_e64 v68, null, s27, v68, vcc_lo
	.loc	1 61 24 is_stmt 1               ; persistent_matmul.py:61:24
	global_load_u16 v184, v[67:68], off
.LBB0_77:                               ;   in Loop: Header=BB0_5 Depth=1
	.loc	1 0 24 is_stmt 0                ; persistent_matmul.py:0:24
	s_or_b32 exec_lo, exec_lo, s0
	s_delay_alu instid0(SALU_CYCLE_1)
	.loc	1 61 24                         ; persistent_matmul.py:61:24
	s_mov_b32 s0, exec_lo
	.loc	1 61 64                         ; persistent_matmul.py:61:64
	v_cmpx_lt_i32_e64 v119, v35
	.loc	1 61 24                         ; persistent_matmul.py:61:24
	s_cbranch_execz .LBB0_79
; %bb.78:                               ;   in Loop: Header=BB0_5 Depth=1
	.loc	1 56 41 is_stmt 1               ; persistent_matmul.py:56:41
	v_or_b32_e32 v55, v34, v119
	s_delay_alu instid0(VALU_DEP_1) | instskip(NEXT) | instid1(VALU_DEP_1)
	.loc	1 58 60                         ; persistent_matmul.py:58:60
	v_mad_u64_u32 v[67:68], null, v55, s30, v[96:97]
	.loc	1 58 30 is_stmt 0               ; persistent_matmul.py:58:30
	v_ashrrev_i32_e32 v68, 31, v67
	s_delay_alu instid0(VALU_DEP_1) | instskip(NEXT) | instid1(VALU_DEP_1)
	v_lshlrev_b64 v[67:68], 1, v[67:68]
	v_add_co_u32 v67, vcc_lo, s26, v67
	s_delay_alu instid0(VALU_DEP_1)
	v_add_co_ci_u32_e64 v68, null, s27, v68, vcc_lo
	.loc	1 61 24 is_stmt 1               ; persistent_matmul.py:61:24
	global_load_u16 v183, v[67:68], off
.LBB0_79:                               ;   in Loop: Header=BB0_5 Depth=1
	.loc	1 0 24 is_stmt 0                ; persistent_matmul.py:0:24
	s_or_b32 exec_lo, exec_lo, s0
	v_dual_mov_b32 v185, 0 :: v_dual_mov_b32 v186, 0
	.loc	1 61 24                         ; persistent_matmul.py:61:24
	s_mov_b32 s0, exec_lo
	.loc	1 61 64                         ; persistent_matmul.py:61:64
	;; [unrolled: 50-line block ×7, first 2 shown]
	v_cmpx_lt_i32_e64 v133, v35
	.loc	1 61 24                         ; persistent_matmul.py:61:24
	s_cbranch_execz .LBB0_101
; %bb.100:                              ;   in Loop: Header=BB0_5 Depth=1
	.loc	1 56 41 is_stmt 1               ; persistent_matmul.py:56:41
	v_or_b32_e32 v55, v34, v133
	s_delay_alu instid0(VALU_DEP_1) | instskip(NEXT) | instid1(VALU_DEP_1)
	.loc	1 58 60                         ; persistent_matmul.py:58:60
	v_mad_u64_u32 v[67:68], null, v55, s30, v[96:97]
	.loc	1 58 30 is_stmt 0               ; persistent_matmul.py:58:30
	v_ashrrev_i32_e32 v68, 31, v67
	s_delay_alu instid0(VALU_DEP_1) | instskip(NEXT) | instid1(VALU_DEP_1)
	v_lshlrev_b64 v[67:68], 1, v[67:68]
	v_add_co_u32 v67, vcc_lo, s26, v67
	s_delay_alu instid0(VALU_DEP_1)
	v_add_co_ci_u32_e64 v68, null, s27, v68, vcc_lo
	.loc	1 61 24 is_stmt 1               ; persistent_matmul.py:61:24
	global_load_u16 v196, v[67:68], off
.LBB0_101:                              ;   in Loop: Header=BB0_5 Depth=1
	.loc	1 0 24 is_stmt 0                ; persistent_matmul.py:0:24
	s_or_b32 exec_lo, exec_lo, s0
	s_delay_alu instid0(SALU_CYCLE_1)
	.loc	1 61 24                         ; persistent_matmul.py:61:24
	s_mov_b32 s0, exec_lo
	.loc	1 61 64                         ; persistent_matmul.py:61:64
	v_cmpx_lt_i32_e64 v134, v35
	.loc	1 61 24                         ; persistent_matmul.py:61:24
	s_cbranch_execz .LBB0_103
; %bb.102:                              ;   in Loop: Header=BB0_5 Depth=1
	.loc	1 56 41 is_stmt 1               ; persistent_matmul.py:56:41
	v_or_b32_e32 v55, v34, v134
	s_delay_alu instid0(VALU_DEP_1) | instskip(NEXT) | instid1(VALU_DEP_1)
	.loc	1 58 60                         ; persistent_matmul.py:58:60
	v_mad_u64_u32 v[34:35], null, v55, s30, v[96:97]
	.loc	1 58 30 is_stmt 0               ; persistent_matmul.py:58:30
	v_ashrrev_i32_e32 v35, 31, v34
	s_delay_alu instid0(VALU_DEP_1) | instskip(NEXT) | instid1(VALU_DEP_1)
	v_lshlrev_b64 v[34:35], 1, v[34:35]
	v_add_co_u32 v34, vcc_lo, s26, v34
	s_delay_alu instid0(VALU_DEP_1)
	v_add_co_ci_u32_e64 v35, null, s27, v35, vcc_lo
	.loc	1 61 24 is_stmt 1               ; persistent_matmul.py:61:24
	global_load_u16 v195, v[34:35], off
.LBB0_103:                              ;   in Loop: Header=BB0_5 Depth=1
	.loc	1 0 24 is_stmt 0                ; persistent_matmul.py:0:24
	s_or_b32 exec_lo, exec_lo, s0
	.loc	1 60 24 is_stmt 1               ; persistent_matmul.py:60:24
	v_add_nc_u32_e32 v34, 0, v130
	s_waitcnt vmcnt(0)
	s_barrier
	buffer_gl0_inv
	.loc	1 61 24                         ; persistent_matmul.py:61:24
	v_add_nc_u32_e32 v197, 0, v127
	.loc	1 60 24                         ; persistent_matmul.py:60:24
	ds_store_b16 v34, v33
	ds_store_b16 v34, v37 offset:1024
	ds_store_b16 v34, v39 offset:2048
	;; [unrolled: 1-line block ×23, first 2 shown]
	v_add_nc_u32_e32 v32, 0, v131
	ds_store_b16 v136, v50 offset:8704
	ds_store_b16 v136, v52 offset:9728
	;; [unrolled: 1-line block ×8, first 2 shown]
	s_waitcnt lgkmcnt(0)
	s_barrier
	buffer_gl0_inv
	ds_load_b128 v[88:91], v32
	ds_load_b128 v[80:83], v32 offset:8192
	ds_load_b128 v[92:95], v137
	ds_load_b128 v[84:87], v137 offset:8192
	;; [unrolled: 2-line block ×8, first 2 shown]
	.loc	1 43 59                         ; persistent_matmul.py:43:59
	s_cmp_eq_u32 s41, s38
	s_cselect_b32 s45, -1, 0
	s_cmp_lg_u32 s41, s38
	.loc	1 61 24                         ; persistent_matmul.py:61:24
	s_waitcnt lgkmcnt(0)
	s_barrier
	buffer_gl0_inv
	ds_store_b16 v197, v182
	ds_store_b16 v197, v181 offset:512
	ds_store_b16 v197, v184 offset:1024
	;; [unrolled: 1-line block ×10, first 2 shown]
	ds_store_b16 v144, v183
	ds_store_b16 v145, v187
	;; [unrolled: 1-line block ×3, first 2 shown]
	ds_store_b16 v197, v196 offset:7168
	ds_store_b16 v147, v195
	s_waitcnt lgkmcnt(0)
	s_barrier
	buffer_gl0_inv
	ds_load_u16 v182, v135 offset:256
	ds_load_u16 v181, v135
	ds_load_u16 v189, v135 offset:64
	ds_load_u16 v187, v135 offset:1536
	;; [unrolled: 1-line block ×17, first 2 shown]
	s_waitcnt lgkmcnt(18)
	ds_load_u16_d16_hi v182, v135 offset:384
	s_waitcnt lgkmcnt(18)
	ds_load_u16_d16_hi v181, v135 offset:128
	;; [unrolled: 2-line block ×3, first 2 shown]
	ds_load_u16 v201, v135 offset:3072
	s_waitcnt lgkmcnt(19)
	ds_load_u16_d16_hi v187, v135 offset:1664
	s_waitcnt lgkmcnt(19)
	ds_load_u16_d16_hi v194, v135 offset:1472
	ds_load_u16 v208, v135 offset:2880
	s_waitcnt lgkmcnt(20)
	ds_load_u16_d16_hi v183, v135 offset:640
	s_waitcnt lgkmcnt(20)
	ds_load_u16_d16_hi v184, v135 offset:896
	s_waitcnt lgkmcnt(20)
	ds_load_u16_d16_hi v185, v135 offset:1152
	s_waitcnt lgkmcnt(20)
	ds_load_u16_d16_hi v186, v135 offset:1408
	s_waitcnt lgkmcnt(20)
	ds_load_u16_d16_hi v193, v135 offset:1216
	s_waitcnt lgkmcnt(19)
	ds_load_u16_d16_hi v192, v135 offset:960
	ds_load_u16_d16_hi v191, v135 offset:704
	s_waitcnt lgkmcnt(20)
	ds_load_u16_d16_hi v190, v135 offset:448
	s_waitcnt lgkmcnt(20)
	ds_load_u16_d16_hi v188, v135 offset:1920
	ds_load_u16 v205, v135 offset:2112
	ds_load_u16 v206, v135 offset:2368
	ds_load_u16 v207, v135 offset:2624
	s_waitcnt lgkmcnt(19)
	ds_load_u16_d16_hi v195, v135 offset:1728
	ds_load_u16 v196, v135 offset:1856
	ds_load_u16 v215, v135 offset:4608
	ds_load_u16 v222, v135 offset:4416
	s_waitcnt lgkmcnt(19)
	ds_load_u16_d16_hi v201, v135 offset:3200
	ds_load_u16 v202, v135 offset:3328
	ds_load_u16 v203, v135 offset:3584
	ds_load_u16 v204, v135 offset:3840
	ds_load_u16 v213, v135 offset:4096
	ds_load_u16 v214, v135 offset:4352
	s_waitcnt lgkmcnt(22)
	ds_load_u16_d16_hi v208, v135 offset:3008
	ds_load_u16 v209, v135 offset:3136
	ds_load_u16 v229, v135 offset:6144
	ds_load_u16 v228, v135 offset:5952
	ds_load_u16 v235, v135 offset:7680
	ds_load_u16 v242, v135 offset:7488
	ds_load_u16_d16_hi v197, v135 offset:2176
	ds_load_u16_d16_hi v198, v135 offset:2432
	;; [unrolled: 1-line block ×4, first 2 shown]
	s_waitcnt lgkmcnt(20)
	ds_load_u16_d16_hi v207, v135 offset:2752
	ds_load_u16_d16_hi v206, v135 offset:2496
	;; [unrolled: 1-line block ×3, first 2 shown]
	s_waitcnt lgkmcnt(21)
	ds_load_u16_d16_hi v196, v135 offset:1984
	s_waitcnt lgkmcnt(21)
	ds_load_u16_d16_hi v215, v135 offset:4736
	ds_load_u16 v216, v135 offset:4864
	ds_load_u16 v217, v135 offset:5120
	;; [unrolled: 1-line block ×5, first 2 shown]
	s_waitcnt lgkmcnt(26)
	ds_load_u16_d16_hi v222, v135 offset:4544
	ds_load_u16 v223, v135 offset:4672
	.loc	1 62 39                         ; persistent_matmul.py:62:39
	v_wmma_f32_16x16x16_bf16 v[0:7], v[181:188], v[88:95], v[0:7]
	v_wmma_f32_16x16x16_bf16 v[16:23], v[181:188], v[80:87], v[16:23]
	.loc	1 61 24                         ; persistent_matmul.py:61:24
	s_waitcnt lgkmcnt(19)
	ds_load_u16_d16_hi v229, v135 offset:6272
	ds_load_u16 v230, v135 offset:6400
	ds_load_u16 v231, v135 offset:6656
	;; [unrolled: 1-line block ×5, first 2 shown]
	s_waitcnt lgkmcnt(24)
	ds_load_u16_d16_hi v228, v135 offset:6080
	ds_load_u16 v237, v135 offset:6208
	s_waitcnt lgkmcnt(25)
	ds_load_u16_d16_hi v235, v135 offset:7808
	ds_load_u16 v236, v135 offset:7936
	;; [unrolled: 3-line block ×3, first 2 shown]
	ds_load_u16_d16_hi v202, v135 offset:3456
	ds_load_u16 v211, v135 offset:3648
	ds_load_u16 v212, v135 offset:3904
	;; [unrolled: 1-line block ×3, first 2 shown]
	ds_load_u16_d16_hi v209, v135 offset:3264
	ds_load_u16 v210, v135 offset:3392
	s_waitcnt lgkmcnt(24)
	ds_load_u16_d16_hi v216, v135 offset:4992
	ds_load_u16 v225, v135 offset:5184
	ds_load_u16 v226, v135 offset:5440
	;; [unrolled: 1-line block ×3, first 2 shown]
	s_waitcnt lgkmcnt(22)
	ds_load_u16_d16_hi v223, v135 offset:4800
	ds_load_u16 v224, v135 offset:4928
	.loc	1 62 39                         ; persistent_matmul.py:62:39
	v_wmma_f32_16x16x16_bf16 v[8:15], v[189:196], v[88:95], v[8:15]
	v_wmma_f32_16x16x16_bf16 v[24:31], v[189:196], v[80:87], v[24:31]
	.loc	1 61 24                         ; persistent_matmul.py:61:24
	s_waitcnt lgkmcnt(22)
	ds_load_u16_d16_hi v230, v135 offset:6528
	ds_load_u16 v239, v135 offset:6720
	ds_load_u16 v240, v135 offset:6976
	;; [unrolled: 1-line block ×3, first 2 shown]
	s_waitcnt lgkmcnt(20)
	ds_load_u16_d16_hi v237, v135 offset:6336
	ds_load_u16 v238, v135 offset:6464
	s_waitcnt lgkmcnt(20)
	ds_load_u16_d16_hi v236, v135 offset:8064
	s_waitcnt lgkmcnt(19)
	ds_load_u16_d16_hi v243, v135 offset:7872
	ds_load_u16 v244, v135 offset:8000
	ds_load_u16_d16_hi v203, v135 offset:3712
	ds_load_u16_d16_hi v204, v135 offset:3968
	ds_load_u16_d16_hi v213, v135 offset:4224
	ds_load_u16_d16_hi v214, v135 offset:4480
	s_waitcnt lgkmcnt(21)
	ds_load_u16_d16_hi v221, v135 offset:4288
	ds_load_u16_d16_hi v212, v135 offset:4032
	ds_load_u16_d16_hi v211, v135 offset:3776
	s_waitcnt lgkmcnt(22)
	ds_load_u16_d16_hi v210, v135 offset:3520
	ds_load_u16_d16_hi v217, v135 offset:5248
	ds_load_u16_d16_hi v218, v135 offset:5504
	ds_load_u16_d16_hi v219, v135 offset:5760
	ds_load_u16_d16_hi v220, v135 offset:6016
	s_waitcnt lgkmcnt(23)
	ds_load_u16_d16_hi v227, v135 offset:5824
	ds_load_u16_d16_hi v226, v135 offset:5568
	ds_load_u16_d16_hi v225, v135 offset:5312
	s_waitcnt lgkmcnt(24)
	ds_load_u16_d16_hi v224, v135 offset:5056
	;; [unrolled: 10-line block ×3, first 2 shown]
	s_waitcnt lgkmcnt(24)
	ds_load_u16_d16_hi v244, v135 offset:8128
	.loc	1 62 39                         ; persistent_matmul.py:62:39
	s_waitcnt lgkmcnt(23)
	v_wmma_f32_16x16x16_bf16 v[0:7], v[197:204], v[72:79], v[0:7]
	v_wmma_f32_16x16x16_bf16 v[16:23], v[197:204], v[64:71], v[16:23]
	s_waitcnt lgkmcnt(17)
	v_wmma_f32_16x16x16_bf16 v[8:15], v[205:212], v[72:79], v[8:15]
	v_wmma_f32_16x16x16_bf16 v[24:31], v[205:212], v[64:71], v[24:31]
	;; [unrolled: 3-line block ×6, first 2 shown]
	.loc	1 43 59                         ; persistent_matmul.py:43:59
	s_cbranch_scc1 .LBB0_4
; %bb.104:                              ;   in Loop: Header=BB0_5 Depth=1
	.loc	1 64 21                         ; persistent_matmul.py:64:21
	s_addk_i32 s39, 0x130
	s_delay_alu instid0(SALU_CYCLE_1)
.Ltmp29:
	.loc	1 10 26                         ; persistent_matmul.py:10:26 @[ persistent_matmul.py:65:90 ]
	s_abs_i32 s0, s39
	s_ashr_i32 s2, s39, 31
	s_mul_hi_u32 s1, s0, s43
	s_xor_b32 s4, s2, s42
	s_mul_i32 s3, s1, s40
	s_add_i32 s5, s1, 1
	s_sub_i32 s3, s0, s3
	s_delay_alu instid0(SALU_CYCLE_1)
	s_sub_i32 s6, s3, s40
	s_cmp_ge_u32 s3, s40
	s_cselect_b32 s1, s5, s1
	s_cselect_b32 s3, s6, s3
	s_add_i32 s5, s1, 1
	s_cmp_ge_u32 s3, s40
	s_cselect_b32 s1, s5, s1
	s_delay_alu instid0(SALU_CYCLE_1) | instskip(NEXT) | instid1(SALU_CYCLE_1)
	s_xor_b32 s1, s1, s4
	s_sub_i32 s1, s1, s4
	s_delay_alu instid0(SALU_CYCLE_1) | instskip(SKIP_2) | instid1(SALU_CYCLE_1)
	.loc	1 11 29                         ; persistent_matmul.py:11:29 @[ persistent_matmul.py:65:90 ]
	s_lshl_b32 s3, s1, 2
	.loc	1 14 23                         ; persistent_matmul.py:14:23 @[ persistent_matmul.py:65:90 ]
	s_mul_i32 s1, s1, s35
	.loc	1 12 35                         ; persistent_matmul.py:12:35 @[ persistent_matmul.py:65:90 ]
	s_sub_i32 s4, s33, s3
	.loc	1 12 48 is_stmt 0               ; persistent_matmul.py:12:48 @[ persistent_matmul.py:65:90 ]
	s_min_i32 s4, s4, 4
	s_delay_alu instid0(SALU_CYCLE_1) | instskip(NEXT) | instid1(SALU_CYCLE_1)
	.loc	1 13 37 is_stmt 1               ; persistent_matmul.py:13:37 @[ persistent_matmul.py:65:90 ]
	s_abs_i32 s5, s4
	v_cvt_f32_u32_e32 v32, s5
	s_sub_i32 s7, 0, s5
	s_delay_alu instid0(VALU_DEP_1) | instskip(SKIP_2) | instid1(VALU_DEP_1)
	v_rcp_iflag_f32_e32 v32, v32
	s_waitcnt_depctr depctr_va_vdst(0)
	v_mul_f32_e32 v32, 0x4f7ffffe, v32
	v_cvt_u32_f32_e32 v32, v32
	s_delay_alu instid0(VALU_DEP_1) | instskip(SKIP_1) | instid1(SALU_CYCLE_1)
	v_readfirstlane_b32 s6, v32
	s_mul_i32 s7, s7, s6
	s_mul_hi_u32 s7, s6, s7
	s_delay_alu instid0(SALU_CYCLE_1) | instskip(NEXT) | instid1(SALU_CYCLE_1)
	s_add_i32 s6, s6, s7
	s_mul_hi_u32 s7, s0, s6
	s_delay_alu instid0(SALU_CYCLE_1) | instskip(NEXT) | instid1(SALU_CYCLE_1)
	s_mul_i32 s7, s7, s5
	s_sub_i32 s0, s0, s7
	s_delay_alu instid0(SALU_CYCLE_1) | instskip(SKIP_2) | instid1(SALU_CYCLE_1)
	s_sub_i32 s7, s0, s5
	s_cmp_ge_u32 s0, s5
	s_cselect_b32 s0, s7, s0
	s_sub_i32 s7, s0, s5
	s_cmp_ge_u32 s0, s5
	s_cselect_b32 s0, s7, s0
	.loc	1 14 23                         ; persistent_matmul.py:14:23 @[ persistent_matmul.py:65:90 ]
	s_sub_i32 s1, s39, s1
	.loc	1 13 37                         ; persistent_matmul.py:13:37 @[ persistent_matmul.py:65:90 ]
	s_xor_b32 s0, s0, s2
	.loc	1 14 44                         ; persistent_matmul.py:14:44 @[ persistent_matmul.py:65:90 ]
	s_xor_b32 s4, s1, s4
	s_abs_i32 s1, s1
	.loc	1 13 37                         ; persistent_matmul.py:13:37 @[ persistent_matmul.py:65:90 ]
	s_sub_i32 s0, s0, s2
	.loc	1 14 44                         ; persistent_matmul.py:14:44 @[ persistent_matmul.py:65:90 ]
	s_mul_hi_u32 s2, s1, s6
	.loc	1 13 27                         ; persistent_matmul.py:13:27 @[ persistent_matmul.py:65:90 ]
	s_add_i32 s3, s3, s0
	.loc	1 14 44                         ; persistent_matmul.py:14:44 @[ persistent_matmul.py:65:90 ]
	s_mul_i32 s6, s2, s5
	s_ashr_i32 s4, s4, 31
	s_sub_i32 s0, s1, s6
	s_add_i32 s1, s2, 1
	s_sub_i32 s6, s0, s5
	s_cmp_ge_u32 s0, s5
	s_cselect_b32 s1, s1, s2
	s_cselect_b32 s0, s6, s0
	s_add_i32 s2, s1, 1
	s_cmp_ge_u32 s0, s5
	s_cselect_b32 s0, s2, s1
.Ltmp30:
	.loc	1 66 26                         ; persistent_matmul.py:66:26
	s_lshl_b32 s17, s3, 7
.Ltmp31:
	.loc	1 14 44                         ; persistent_matmul.py:14:44 @[ persistent_matmul.py:65:90 ]
	s_xor_b32 s0, s0, s4
.Ltmp32:
	.loc	1 66 41                         ; persistent_matmul.py:66:41
	v_or_b32_e32 v35, s17, v109
.Ltmp33:
	.loc	1 14 44                         ; persistent_matmul.py:14:44 @[ persistent_matmul.py:65:90 ]
	s_sub_i32 s0, s0, s4
	s_delay_alu instid0(SALU_CYCLE_1) | instskip(NEXT) | instid1(VALU_DEP_1)
.Ltmp34:
	.loc	1 67 26                         ; persistent_matmul.py:67:26
	s_lshl_b32 s46, s0, 6
	.loc	1 68 37                         ; persistent_matmul.py:68:37
	v_mul_lo_u32 v32, v35, s18
	.loc	1 67 41                         ; persistent_matmul.py:67:41
	v_or_b32_e32 v36, s46, v97
	.loc	1 69 37                         ; persistent_matmul.py:69:37
	v_cmp_gt_i32_e64 s4, s22, v35
	s_delay_alu instid0(VALU_DEP_2) | instskip(NEXT) | instid1(VALU_DEP_4)
	.loc	1 69 62 is_stmt 0               ; persistent_matmul.py:69:62
	v_cmp_gt_i32_e32 vcc_lo, s23, v36
	.loc	1 68 25 is_stmt 1               ; persistent_matmul.py:68:25
	v_ashrrev_i32_e32 v33, 31, v32
	s_delay_alu instid0(VALU_DEP_1) | instskip(SKIP_1) | instid1(VALU_DEP_2)
	v_lshlrev_b64 v[33:34], 1, v[32:33]
	.loc	1 68 68 is_stmt 0               ; persistent_matmul.py:68:68
	v_mul_lo_u32 v32, v36, s19
	.loc	1 68 25                         ; persistent_matmul.py:68:25
	v_add_co_u32 v64, s0, s20, v33
	s_delay_alu instid0(VALU_DEP_1) | instskip(NEXT) | instid1(VALU_DEP_3)
	v_add_co_ci_u32_e64 v65, null, s21, v34, s0
	.loc	1 68 56                         ; persistent_matmul.py:68:56
	v_ashrrev_i32_e32 v33, 31, v32
	.loc	1 69 43 is_stmt 1               ; persistent_matmul.py:69:43
	s_and_b32 s0, s4, vcc_lo
	s_delay_alu instid0(SALU_CYCLE_1)
	.loc	1 74 25                         ; persistent_matmul.py:74:25
	s_and_saveexec_b32 s1, s0
	s_cbranch_execz .LBB0_106
; %bb.105:                              ;   in Loop: Header=BB0_5 Depth=1
	.loc	1 73 31                         ; persistent_matmul.py:73:31
	v_bfe_u32 v34, v0, 16, 1
	v_cmp_o_f32_e64 s0, v0, v0
	s_delay_alu instid0(VALU_DEP_2) | instskip(NEXT) | instid1(VALU_DEP_1)
	v_add3_u32 v34, v0, v34, 0x7fff
	v_lshrrev_b32_e32 v36, 16, v34
	.loc	1 68 56                         ; persistent_matmul.py:68:56
	v_lshlrev_b64 v[34:35], 1, v[32:33]
	s_delay_alu instid0(VALU_DEP_2) | instskip(NEXT) | instid1(VALU_DEP_2)
	.loc	1 73 31                         ; persistent_matmul.py:73:31
	v_cndmask_b32_e64 v36, 0x7fff, v36, s0
	.loc	1 68 56                         ; persistent_matmul.py:68:56
	v_add_co_u32 v34, s0, v64, v34
	s_delay_alu instid0(VALU_DEP_1)
	v_add_co_ci_u32_e64 v35, null, v65, v35, s0
	.loc	1 74 25                         ; persistent_matmul.py:74:25
	global_store_b16 v[34:35], v36, off
.LBB0_106:                              ;   in Loop: Header=BB0_5 Depth=1
	.loc	1 0 25 is_stmt 0                ; persistent_matmul.py:0:25
	s_or_b32 exec_lo, exec_lo, s1
	.loc	1 67 41 is_stmt 1               ; persistent_matmul.py:67:41
	v_or_b32_e32 v35, s46, v98
	s_delay_alu instid0(VALU_DEP_1)
	.loc	1 68 68                         ; persistent_matmul.py:68:68
	v_mul_lo_u32 v34, v35, s19
	.loc	1 69 62                         ; persistent_matmul.py:69:62
	v_cmp_gt_i32_e64 s0, s23, v35
	.loc	1 69 43 is_stmt 0               ; persistent_matmul.py:69:43
	s_and_b32 s1, s4, s0
	.loc	1 68 56 is_stmt 1               ; persistent_matmul.py:68:56
	v_ashrrev_i32_e32 v35, 31, v34
	.loc	1 74 25                         ; persistent_matmul.py:74:25
	s_and_saveexec_b32 s2, s1
	s_cbranch_execz .LBB0_108
; %bb.107:                              ;   in Loop: Header=BB0_5 Depth=1
	.loc	1 73 31                         ; persistent_matmul.py:73:31
	v_bfe_u32 v36, v1, 16, 1
	s_delay_alu instid0(VALU_DEP_1) | instskip(SKIP_1) | instid1(VALU_DEP_2)
	v_add3_u32 v38, v1, v36, 0x7fff
	.loc	1 68 56                         ; persistent_matmul.py:68:56
	v_lshlrev_b64 v[36:37], 1, v[34:35]
	.loc	1 73 31                         ; persistent_matmul.py:73:31
	v_lshrrev_b32_e32 v38, 16, v38
	s_delay_alu instid0(VALU_DEP_2) | instskip(NEXT) | instid1(VALU_DEP_1)
	.loc	1 68 56                         ; persistent_matmul.py:68:56
	v_add_co_u32 v36, s1, v64, v36
	v_add_co_ci_u32_e64 v37, null, v65, v37, s1
	.loc	1 73 31                         ; persistent_matmul.py:73:31
	v_cmp_o_f32_e64 s1, v1, v1
	s_delay_alu instid0(VALU_DEP_1)
	v_cndmask_b32_e64 v38, 0x7fff, v38, s1
	.loc	1 74 25                         ; persistent_matmul.py:74:25
	global_store_b16 v[36:37], v38, off
.LBB0_108:                              ;   in Loop: Header=BB0_5 Depth=1
	.loc	1 0 25 is_stmt 0                ; persistent_matmul.py:0:25
	s_or_b32 exec_lo, exec_lo, s2
	.loc	1 67 41 is_stmt 1               ; persistent_matmul.py:67:41
	v_or_b32_e32 v37, s46, v99
	s_delay_alu instid0(VALU_DEP_1)
	.loc	1 68 68                         ; persistent_matmul.py:68:68
	v_mul_lo_u32 v36, v37, s19
	.loc	1 69 62                         ; persistent_matmul.py:69:62
	v_cmp_gt_i32_e64 s1, s23, v37
	.loc	1 69 43 is_stmt 0               ; persistent_matmul.py:69:43
	s_and_b32 s2, s4, s1
	.loc	1 68 56 is_stmt 1               ; persistent_matmul.py:68:56
	v_ashrrev_i32_e32 v37, 31, v36
	.loc	1 74 25                         ; persistent_matmul.py:74:25
	s_and_saveexec_b32 s3, s2
	s_cbranch_execz .LBB0_110
; %bb.109:                              ;   in Loop: Header=BB0_5 Depth=1
	.loc	1 73 31                         ; persistent_matmul.py:73:31
	v_bfe_u32 v38, v2, 16, 1
	s_delay_alu instid0(VALU_DEP_1) | instskip(SKIP_1) | instid1(VALU_DEP_2)
	v_add3_u32 v40, v2, v38, 0x7fff
	.loc	1 68 56                         ; persistent_matmul.py:68:56
	v_lshlrev_b64 v[38:39], 1, v[36:37]
	.loc	1 73 31                         ; persistent_matmul.py:73:31
	v_lshrrev_b32_e32 v40, 16, v40
	s_delay_alu instid0(VALU_DEP_2) | instskip(NEXT) | instid1(VALU_DEP_1)
	.loc	1 68 56                         ; persistent_matmul.py:68:56
	v_add_co_u32 v38, s2, v64, v38
	v_add_co_ci_u32_e64 v39, null, v65, v39, s2
	.loc	1 73 31                         ; persistent_matmul.py:73:31
	v_cmp_o_f32_e64 s2, v2, v2
	s_delay_alu instid0(VALU_DEP_1)
	v_cndmask_b32_e64 v40, 0x7fff, v40, s2
	.loc	1 74 25                         ; persistent_matmul.py:74:25
	global_store_b16 v[38:39], v40, off
.LBB0_110:                              ;   in Loop: Header=BB0_5 Depth=1
	;; [unrolled: 36-line block ×15, first 2 shown]
	.loc	1 0 25 is_stmt 0                ; persistent_matmul.py:0:25
	s_or_b32 exec_lo, exec_lo, s46
	.loc	1 66 41 is_stmt 1               ; persistent_matmul.py:66:41
	v_or_b32_e32 v66, s17, v114
	s_delay_alu instid0(VALU_DEP_1) | instskip(SKIP_3) | instid1(VALU_DEP_1)
	.loc	1 68 37                         ; persistent_matmul.py:68:37
	v_mul_lo_u32 v64, v66, s18
	.loc	1 69 37                         ; persistent_matmul.py:69:37
	v_cmp_gt_i32_e64 s4, s22, v66
	.loc	1 69 43 is_stmt 0               ; persistent_matmul.py:69:43
	s_and_b32 s46, s4, vcc_lo
	.loc	1 68 25 is_stmt 1               ; persistent_matmul.py:68:25
	v_ashrrev_i32_e32 v65, 31, v64
	v_lshlrev_b64 v[64:65], 1, v[64:65]
	s_delay_alu instid0(VALU_DEP_1) | instskip(NEXT) | instid1(VALU_DEP_1)
	v_add_co_u32 v64, s17, s20, v64
	v_add_co_ci_u32_e64 v65, null, s21, v65, s17
	.loc	1 74 25                         ; persistent_matmul.py:74:25
	s_and_saveexec_b32 s17, s46
	s_cbranch_execnz .LBB0_152
; %bb.137:                              ;   in Loop: Header=BB0_5 Depth=1
	.loc	1 0 25 is_stmt 0                ; persistent_matmul.py:0:25
	s_or_b32 exec_lo, exec_lo, s17
	.loc	1 69 43 is_stmt 1               ; persistent_matmul.py:69:43
	s_and_b32 s17, s4, s0
	s_delay_alu instid0(SALU_CYCLE_1)
	.loc	1 74 25                         ; persistent_matmul.py:74:25
	s_and_saveexec_b32 s0, s17
	s_cbranch_execnz .LBB0_153
.LBB0_138:                              ;   in Loop: Header=BB0_5 Depth=1
	.loc	1 0 25 is_stmt 0                ; persistent_matmul.py:0:25
	s_or_b32 exec_lo, exec_lo, s0
	.loc	1 69 43 is_stmt 1               ; persistent_matmul.py:69:43
	s_and_b32 s1, s4, s1
	s_delay_alu instid0(SALU_CYCLE_1)
	.loc	1 74 25                         ; persistent_matmul.py:74:25
	s_and_saveexec_b32 s0, s1
	s_cbranch_execnz .LBB0_154
.LBB0_139:                              ;   in Loop: Header=BB0_5 Depth=1
	.loc	1 0 25 is_stmt 0                ; persistent_matmul.py:0:25
	s_or_b32 exec_lo, exec_lo, s0
	.loc	1 69 43 is_stmt 1               ; persistent_matmul.py:69:43
	s_and_b32 s1, s4, s2
	s_delay_alu instid0(SALU_CYCLE_1)
	.loc	1 74 25                         ; persistent_matmul.py:74:25
	s_and_saveexec_b32 s0, s1
	s_cbranch_execnz .LBB0_155
.LBB0_140:                              ;   in Loop: Header=BB0_5 Depth=1
	.loc	1 0 25 is_stmt 0                ; persistent_matmul.py:0:25
	s_or_b32 exec_lo, exec_lo, s0
	.loc	1 69 43 is_stmt 1               ; persistent_matmul.py:69:43
	s_and_b32 s1, s4, s3
	s_delay_alu instid0(SALU_CYCLE_1)
	.loc	1 74 25                         ; persistent_matmul.py:74:25
	s_and_saveexec_b32 s0, s1
	s_cbranch_execnz .LBB0_156
.LBB0_141:                              ;   in Loop: Header=BB0_5 Depth=1
	.loc	1 0 25 is_stmt 0                ; persistent_matmul.py:0:25
	s_or_b32 exec_lo, exec_lo, s0
	.loc	1 69 43 is_stmt 1               ; persistent_matmul.py:69:43
	s_and_b32 s1, s4, s5
	s_delay_alu instid0(SALU_CYCLE_1)
	.loc	1 74 25                         ; persistent_matmul.py:74:25
	s_and_saveexec_b32 s0, s1
	s_cbranch_execnz .LBB0_157
.LBB0_142:                              ;   in Loop: Header=BB0_5 Depth=1
	.loc	1 0 25 is_stmt 0                ; persistent_matmul.py:0:25
	s_or_b32 exec_lo, exec_lo, s0
	.loc	1 69 43 is_stmt 1               ; persistent_matmul.py:69:43
	s_and_b32 s1, s4, s6
	s_delay_alu instid0(SALU_CYCLE_1)
	.loc	1 74 25                         ; persistent_matmul.py:74:25
	s_and_saveexec_b32 s0, s1
	s_cbranch_execnz .LBB0_158
.LBB0_143:                              ;   in Loop: Header=BB0_5 Depth=1
	.loc	1 0 25 is_stmt 0                ; persistent_matmul.py:0:25
	s_or_b32 exec_lo, exec_lo, s0
	.loc	1 69 43 is_stmt 1               ; persistent_matmul.py:69:43
	s_and_b32 s1, s4, s7
	s_delay_alu instid0(SALU_CYCLE_1)
	.loc	1 74 25                         ; persistent_matmul.py:74:25
	s_and_saveexec_b32 s0, s1
	s_cbranch_execnz .LBB0_159
.LBB0_144:                              ;   in Loop: Header=BB0_5 Depth=1
	.loc	1 0 25 is_stmt 0                ; persistent_matmul.py:0:25
	s_or_b32 exec_lo, exec_lo, s0
	.loc	1 69 43 is_stmt 1               ; persistent_matmul.py:69:43
	s_and_b32 s1, s4, s8
	s_delay_alu instid0(SALU_CYCLE_1)
	.loc	1 74 25                         ; persistent_matmul.py:74:25
	s_and_saveexec_b32 s0, s1
	s_cbranch_execnz .LBB0_160
.LBB0_145:                              ;   in Loop: Header=BB0_5 Depth=1
	.loc	1 0 25 is_stmt 0                ; persistent_matmul.py:0:25
	s_or_b32 exec_lo, exec_lo, s0
	.loc	1 69 43 is_stmt 1               ; persistent_matmul.py:69:43
	s_and_b32 s1, s4, s9
	s_delay_alu instid0(SALU_CYCLE_1)
	.loc	1 74 25                         ; persistent_matmul.py:74:25
	s_and_saveexec_b32 s0, s1
	s_cbranch_execnz .LBB0_161
.LBB0_146:                              ;   in Loop: Header=BB0_5 Depth=1
	.loc	1 0 25 is_stmt 0                ; persistent_matmul.py:0:25
	s_or_b32 exec_lo, exec_lo, s0
	.loc	1 69 43 is_stmt 1               ; persistent_matmul.py:69:43
	s_and_b32 s1, s4, s10
	s_delay_alu instid0(SALU_CYCLE_1)
	.loc	1 74 25                         ; persistent_matmul.py:74:25
	s_and_saveexec_b32 s0, s1
	s_cbranch_execnz .LBB0_162
.LBB0_147:                              ;   in Loop: Header=BB0_5 Depth=1
	.loc	1 0 25 is_stmt 0                ; persistent_matmul.py:0:25
	s_or_b32 exec_lo, exec_lo, s0
	.loc	1 69 43 is_stmt 1               ; persistent_matmul.py:69:43
	s_and_b32 s1, s4, s11
	s_delay_alu instid0(SALU_CYCLE_1)
	.loc	1 74 25                         ; persistent_matmul.py:74:25
	s_and_saveexec_b32 s0, s1
	s_cbranch_execnz .LBB0_163
.LBB0_148:                              ;   in Loop: Header=BB0_5 Depth=1
	.loc	1 0 25 is_stmt 0                ; persistent_matmul.py:0:25
	s_or_b32 exec_lo, exec_lo, s0
	.loc	1 69 43 is_stmt 1               ; persistent_matmul.py:69:43
	s_and_b32 s1, s4, s12
	s_delay_alu instid0(SALU_CYCLE_1)
	.loc	1 74 25                         ; persistent_matmul.py:74:25
	s_and_saveexec_b32 s0, s1
	s_cbranch_execnz .LBB0_164
.LBB0_149:                              ;   in Loop: Header=BB0_5 Depth=1
	.loc	1 0 25 is_stmt 0                ; persistent_matmul.py:0:25
	s_or_b32 exec_lo, exec_lo, s0
	.loc	1 69 43 is_stmt 1               ; persistent_matmul.py:69:43
	s_and_b32 s1, s4, s13
	s_delay_alu instid0(SALU_CYCLE_1)
	.loc	1 74 25                         ; persistent_matmul.py:74:25
	s_and_saveexec_b32 s0, s1
	s_cbranch_execnz .LBB0_165
.LBB0_150:                              ;   in Loop: Header=BB0_5 Depth=1
	.loc	1 0 25 is_stmt 0                ; persistent_matmul.py:0:25
	s_or_b32 exec_lo, exec_lo, s0
	.loc	1 69 43 is_stmt 1               ; persistent_matmul.py:69:43
	s_and_b32 s1, s4, s14
	s_delay_alu instid0(SALU_CYCLE_1)
	.loc	1 74 25                         ; persistent_matmul.py:74:25
	s_and_saveexec_b32 s0, s1
	s_cbranch_execnz .LBB0_166
.LBB0_151:                              ;   in Loop: Header=BB0_5 Depth=1
	.loc	1 0 25 is_stmt 0                ; persistent_matmul.py:0:25
	s_or_b32 exec_lo, exec_lo, s0
	.loc	1 69 43 is_stmt 1               ; persistent_matmul.py:69:43
	s_and_b32 s1, s4, s16
	s_delay_alu instid0(SALU_CYCLE_1)
	.loc	1 74 25                         ; persistent_matmul.py:74:25
	s_and_saveexec_b32 s0, s1
	s_cbranch_execz .LBB0_3
	s_branch .LBB0_167
.LBB0_152:                              ;   in Loop: Header=BB0_5 Depth=1
	.loc	1 73 31                         ; persistent_matmul.py:73:31
	v_bfe_u32 v66, v16, 16, 1
	.loc	1 68 56                         ; persistent_matmul.py:68:56
	v_lshlrev_b64 v[32:33], 1, v[32:33]
	s_delay_alu instid0(VALU_DEP_2) | instskip(NEXT) | instid1(VALU_DEP_2)
	.loc	1 73 31                         ; persistent_matmul.py:73:31
	v_add3_u32 v66, v16, v66, 0x7fff
	.loc	1 68 56                         ; persistent_matmul.py:68:56
	v_add_co_u32 v32, vcc_lo, v64, v32
	s_delay_alu instid0(VALU_DEP_1) | instskip(NEXT) | instid1(VALU_DEP_3)
	v_add_co_ci_u32_e64 v33, null, v65, v33, vcc_lo
	.loc	1 73 31                         ; persistent_matmul.py:73:31
	v_lshrrev_b32_e32 v66, 16, v66
	v_cmp_o_f32_e32 vcc_lo, v16, v16
	s_delay_alu instid0(VALU_DEP_2) | instskip(SKIP_3) | instid1(SALU_CYCLE_1)
	v_cndmask_b32_e32 v66, 0x7fff, v66, vcc_lo
	.loc	1 74 25                         ; persistent_matmul.py:74:25
	global_store_b16 v[32:33], v66, off
	s_or_b32 exec_lo, exec_lo, s17
	.loc	1 69 43                         ; persistent_matmul.py:69:43
	s_and_b32 s17, s4, s0
	.loc	1 74 25                         ; persistent_matmul.py:74:25
	s_and_saveexec_b32 s0, s17
	s_cbranch_execz .LBB0_138
.LBB0_153:                              ;   in Loop: Header=BB0_5 Depth=1
	.loc	1 73 31                         ; persistent_matmul.py:73:31
	v_bfe_u32 v32, v17, 16, 1
	s_delay_alu instid0(VALU_DEP_1) | instskip(SKIP_1) | instid1(VALU_DEP_2)
	v_add3_u32 v66, v17, v32, 0x7fff
	.loc	1 68 56                         ; persistent_matmul.py:68:56
	v_lshlrev_b64 v[32:33], 1, v[34:35]
	.loc	1 73 31                         ; persistent_matmul.py:73:31
	v_lshrrev_b32_e32 v34, 16, v66
	s_delay_alu instid0(VALU_DEP_2) | instskip(NEXT) | instid1(VALU_DEP_1)
	.loc	1 68 56                         ; persistent_matmul.py:68:56
	v_add_co_u32 v32, vcc_lo, v64, v32
	v_add_co_ci_u32_e64 v33, null, v65, v33, vcc_lo
	.loc	1 73 31                         ; persistent_matmul.py:73:31
	v_cmp_o_f32_e32 vcc_lo, v17, v17
	s_delay_alu instid0(VALU_DEP_4) | instskip(SKIP_3) | instid1(SALU_CYCLE_1)
	v_cndmask_b32_e32 v34, 0x7fff, v34, vcc_lo
	.loc	1 74 25                         ; persistent_matmul.py:74:25
	global_store_b16 v[32:33], v34, off
	s_or_b32 exec_lo, exec_lo, s0
	.loc	1 69 43                         ; persistent_matmul.py:69:43
	s_and_b32 s1, s4, s1
	.loc	1 74 25                         ; persistent_matmul.py:74:25
	s_and_saveexec_b32 s0, s1
	s_cbranch_execz .LBB0_139
.LBB0_154:                              ;   in Loop: Header=BB0_5 Depth=1
	.loc	1 73 31                         ; persistent_matmul.py:73:31
	v_bfe_u32 v32, v18, 16, 1
	s_delay_alu instid0(VALU_DEP_1) | instskip(SKIP_1) | instid1(VALU_DEP_2)
	v_add3_u32 v34, v18, v32, 0x7fff
	.loc	1 68 56                         ; persistent_matmul.py:68:56
	v_lshlrev_b64 v[32:33], 1, v[36:37]
	.loc	1 73 31                         ; persistent_matmul.py:73:31
	v_lshrrev_b32_e32 v34, 16, v34
	s_delay_alu instid0(VALU_DEP_2) | instskip(NEXT) | instid1(VALU_DEP_1)
	.loc	1 68 56                         ; persistent_matmul.py:68:56
	v_add_co_u32 v32, vcc_lo, v64, v32
	v_add_co_ci_u32_e64 v33, null, v65, v33, vcc_lo
	.loc	1 73 31                         ; persistent_matmul.py:73:31
	v_cmp_o_f32_e32 vcc_lo, v18, v18
	s_delay_alu instid0(VALU_DEP_4) | instskip(SKIP_3) | instid1(SALU_CYCLE_1)
	v_cndmask_b32_e32 v34, 0x7fff, v34, vcc_lo
	.loc	1 74 25                         ; persistent_matmul.py:74:25
	global_store_b16 v[32:33], v34, off
	s_or_b32 exec_lo, exec_lo, s0
	.loc	1 69 43                         ; persistent_matmul.py:69:43
	s_and_b32 s1, s4, s2
	.loc	1 74 25                         ; persistent_matmul.py:74:25
	s_and_saveexec_b32 s0, s1
	s_cbranch_execz .LBB0_140
.LBB0_155:                              ;   in Loop: Header=BB0_5 Depth=1
	.loc	1 73 31                         ; persistent_matmul.py:73:31
	v_bfe_u32 v32, v19, 16, 1
	s_delay_alu instid0(VALU_DEP_1) | instskip(SKIP_1) | instid1(VALU_DEP_2)
	v_add3_u32 v34, v19, v32, 0x7fff
	.loc	1 68 56                         ; persistent_matmul.py:68:56
	v_lshlrev_b64 v[32:33], 1, v[38:39]
	.loc	1 73 31                         ; persistent_matmul.py:73:31
	v_lshrrev_b32_e32 v34, 16, v34
	s_delay_alu instid0(VALU_DEP_2) | instskip(NEXT) | instid1(VALU_DEP_1)
	.loc	1 68 56                         ; persistent_matmul.py:68:56
	v_add_co_u32 v32, vcc_lo, v64, v32
	v_add_co_ci_u32_e64 v33, null, v65, v33, vcc_lo
	.loc	1 73 31                         ; persistent_matmul.py:73:31
	v_cmp_o_f32_e32 vcc_lo, v19, v19
	s_delay_alu instid0(VALU_DEP_4) | instskip(SKIP_3) | instid1(SALU_CYCLE_1)
	v_cndmask_b32_e32 v34, 0x7fff, v34, vcc_lo
	.loc	1 74 25                         ; persistent_matmul.py:74:25
	global_store_b16 v[32:33], v34, off
	s_or_b32 exec_lo, exec_lo, s0
	.loc	1 69 43                         ; persistent_matmul.py:69:43
	s_and_b32 s1, s4, s3
	.loc	1 74 25                         ; persistent_matmul.py:74:25
	s_and_saveexec_b32 s0, s1
	s_cbranch_execz .LBB0_141
.LBB0_156:                              ;   in Loop: Header=BB0_5 Depth=1
	.loc	1 73 31                         ; persistent_matmul.py:73:31
	v_bfe_u32 v32, v20, 16, 1
	s_delay_alu instid0(VALU_DEP_1) | instskip(SKIP_1) | instid1(VALU_DEP_2)
	v_add3_u32 v34, v20, v32, 0x7fff
	.loc	1 68 56                         ; persistent_matmul.py:68:56
	v_lshlrev_b64 v[32:33], 1, v[40:41]
	.loc	1 73 31                         ; persistent_matmul.py:73:31
	v_lshrrev_b32_e32 v34, 16, v34
	s_delay_alu instid0(VALU_DEP_2) | instskip(NEXT) | instid1(VALU_DEP_1)
	.loc	1 68 56                         ; persistent_matmul.py:68:56
	v_add_co_u32 v32, vcc_lo, v64, v32
	v_add_co_ci_u32_e64 v33, null, v65, v33, vcc_lo
	.loc	1 73 31                         ; persistent_matmul.py:73:31
	v_cmp_o_f32_e32 vcc_lo, v20, v20
	s_delay_alu instid0(VALU_DEP_4) | instskip(SKIP_3) | instid1(SALU_CYCLE_1)
	v_cndmask_b32_e32 v34, 0x7fff, v34, vcc_lo
	.loc	1 74 25                         ; persistent_matmul.py:74:25
	global_store_b16 v[32:33], v34, off
	s_or_b32 exec_lo, exec_lo, s0
	.loc	1 69 43                         ; persistent_matmul.py:69:43
	s_and_b32 s1, s4, s5
	.loc	1 74 25                         ; persistent_matmul.py:74:25
	s_and_saveexec_b32 s0, s1
	s_cbranch_execz .LBB0_142
.LBB0_157:                              ;   in Loop: Header=BB0_5 Depth=1
	.loc	1 73 31                         ; persistent_matmul.py:73:31
	v_bfe_u32 v32, v21, 16, 1
	s_delay_alu instid0(VALU_DEP_1) | instskip(SKIP_1) | instid1(VALU_DEP_2)
	v_add3_u32 v34, v21, v32, 0x7fff
	.loc	1 68 56                         ; persistent_matmul.py:68:56
	v_lshlrev_b64 v[32:33], 1, v[42:43]
	.loc	1 73 31                         ; persistent_matmul.py:73:31
	v_lshrrev_b32_e32 v34, 16, v34
	s_delay_alu instid0(VALU_DEP_2) | instskip(NEXT) | instid1(VALU_DEP_1)
	.loc	1 68 56                         ; persistent_matmul.py:68:56
	v_add_co_u32 v32, vcc_lo, v64, v32
	v_add_co_ci_u32_e64 v33, null, v65, v33, vcc_lo
	.loc	1 73 31                         ; persistent_matmul.py:73:31
	v_cmp_o_f32_e32 vcc_lo, v21, v21
	s_delay_alu instid0(VALU_DEP_4) | instskip(SKIP_3) | instid1(SALU_CYCLE_1)
	v_cndmask_b32_e32 v34, 0x7fff, v34, vcc_lo
	.loc	1 74 25                         ; persistent_matmul.py:74:25
	global_store_b16 v[32:33], v34, off
	s_or_b32 exec_lo, exec_lo, s0
	.loc	1 69 43                         ; persistent_matmul.py:69:43
	s_and_b32 s1, s4, s6
	.loc	1 74 25                         ; persistent_matmul.py:74:25
	s_and_saveexec_b32 s0, s1
	s_cbranch_execz .LBB0_143
.LBB0_158:                              ;   in Loop: Header=BB0_5 Depth=1
	.loc	1 73 31                         ; persistent_matmul.py:73:31
	v_bfe_u32 v32, v22, 16, 1
	s_delay_alu instid0(VALU_DEP_1) | instskip(SKIP_1) | instid1(VALU_DEP_2)
	v_add3_u32 v34, v22, v32, 0x7fff
	.loc	1 68 56                         ; persistent_matmul.py:68:56
	v_lshlrev_b64 v[32:33], 1, v[44:45]
	.loc	1 73 31                         ; persistent_matmul.py:73:31
	v_lshrrev_b32_e32 v34, 16, v34
	s_delay_alu instid0(VALU_DEP_2) | instskip(NEXT) | instid1(VALU_DEP_1)
	.loc	1 68 56                         ; persistent_matmul.py:68:56
	v_add_co_u32 v32, vcc_lo, v64, v32
	v_add_co_ci_u32_e64 v33, null, v65, v33, vcc_lo
	.loc	1 73 31                         ; persistent_matmul.py:73:31
	v_cmp_o_f32_e32 vcc_lo, v22, v22
	s_delay_alu instid0(VALU_DEP_4) | instskip(SKIP_3) | instid1(SALU_CYCLE_1)
	v_cndmask_b32_e32 v34, 0x7fff, v34, vcc_lo
	.loc	1 74 25                         ; persistent_matmul.py:74:25
	global_store_b16 v[32:33], v34, off
	s_or_b32 exec_lo, exec_lo, s0
	.loc	1 69 43                         ; persistent_matmul.py:69:43
	s_and_b32 s1, s4, s7
	.loc	1 74 25                         ; persistent_matmul.py:74:25
	s_and_saveexec_b32 s0, s1
	s_cbranch_execz .LBB0_144
.LBB0_159:                              ;   in Loop: Header=BB0_5 Depth=1
	.loc	1 73 31                         ; persistent_matmul.py:73:31
	v_bfe_u32 v32, v23, 16, 1
	s_delay_alu instid0(VALU_DEP_1) | instskip(SKIP_1) | instid1(VALU_DEP_2)
	v_add3_u32 v34, v23, v32, 0x7fff
	.loc	1 68 56                         ; persistent_matmul.py:68:56
	v_lshlrev_b64 v[32:33], 1, v[46:47]
	.loc	1 73 31                         ; persistent_matmul.py:73:31
	v_lshrrev_b32_e32 v34, 16, v34
	s_delay_alu instid0(VALU_DEP_2) | instskip(NEXT) | instid1(VALU_DEP_1)
	.loc	1 68 56                         ; persistent_matmul.py:68:56
	v_add_co_u32 v32, vcc_lo, v64, v32
	v_add_co_ci_u32_e64 v33, null, v65, v33, vcc_lo
	.loc	1 73 31                         ; persistent_matmul.py:73:31
	v_cmp_o_f32_e32 vcc_lo, v23, v23
	s_delay_alu instid0(VALU_DEP_4) | instskip(SKIP_3) | instid1(SALU_CYCLE_1)
	v_cndmask_b32_e32 v34, 0x7fff, v34, vcc_lo
	.loc	1 74 25                         ; persistent_matmul.py:74:25
	global_store_b16 v[32:33], v34, off
	s_or_b32 exec_lo, exec_lo, s0
	.loc	1 69 43                         ; persistent_matmul.py:69:43
	s_and_b32 s1, s4, s8
	.loc	1 74 25                         ; persistent_matmul.py:74:25
	s_and_saveexec_b32 s0, s1
	s_cbranch_execz .LBB0_145
.LBB0_160:                              ;   in Loop: Header=BB0_5 Depth=1
	.loc	1 73 31                         ; persistent_matmul.py:73:31
	v_bfe_u32 v32, v24, 16, 1
	s_delay_alu instid0(VALU_DEP_1) | instskip(SKIP_1) | instid1(VALU_DEP_2)
	v_add3_u32 v34, v24, v32, 0x7fff
	.loc	1 68 56                         ; persistent_matmul.py:68:56
	v_lshlrev_b64 v[32:33], 1, v[48:49]
	.loc	1 73 31                         ; persistent_matmul.py:73:31
	v_lshrrev_b32_e32 v34, 16, v34
	s_delay_alu instid0(VALU_DEP_2) | instskip(NEXT) | instid1(VALU_DEP_1)
	.loc	1 68 56                         ; persistent_matmul.py:68:56
	v_add_co_u32 v32, vcc_lo, v64, v32
	v_add_co_ci_u32_e64 v33, null, v65, v33, vcc_lo
	.loc	1 73 31                         ; persistent_matmul.py:73:31
	v_cmp_o_f32_e32 vcc_lo, v24, v24
	s_delay_alu instid0(VALU_DEP_4) | instskip(SKIP_3) | instid1(SALU_CYCLE_1)
	v_cndmask_b32_e32 v34, 0x7fff, v34, vcc_lo
	.loc	1 74 25                         ; persistent_matmul.py:74:25
	global_store_b16 v[32:33], v34, off
	s_or_b32 exec_lo, exec_lo, s0
	.loc	1 69 43                         ; persistent_matmul.py:69:43
	s_and_b32 s1, s4, s9
	.loc	1 74 25                         ; persistent_matmul.py:74:25
	s_and_saveexec_b32 s0, s1
	s_cbranch_execz .LBB0_146
.LBB0_161:                              ;   in Loop: Header=BB0_5 Depth=1
	.loc	1 73 31                         ; persistent_matmul.py:73:31
	v_bfe_u32 v32, v25, 16, 1
	s_delay_alu instid0(VALU_DEP_1) | instskip(SKIP_1) | instid1(VALU_DEP_2)
	v_add3_u32 v34, v25, v32, 0x7fff
	.loc	1 68 56                         ; persistent_matmul.py:68:56
	v_lshlrev_b64 v[32:33], 1, v[50:51]
	.loc	1 73 31                         ; persistent_matmul.py:73:31
	v_lshrrev_b32_e32 v34, 16, v34
	s_delay_alu instid0(VALU_DEP_2) | instskip(NEXT) | instid1(VALU_DEP_1)
	.loc	1 68 56                         ; persistent_matmul.py:68:56
	v_add_co_u32 v32, vcc_lo, v64, v32
	v_add_co_ci_u32_e64 v33, null, v65, v33, vcc_lo
	.loc	1 73 31                         ; persistent_matmul.py:73:31
	v_cmp_o_f32_e32 vcc_lo, v25, v25
	s_delay_alu instid0(VALU_DEP_4) | instskip(SKIP_3) | instid1(SALU_CYCLE_1)
	v_cndmask_b32_e32 v34, 0x7fff, v34, vcc_lo
	.loc	1 74 25                         ; persistent_matmul.py:74:25
	global_store_b16 v[32:33], v34, off
	s_or_b32 exec_lo, exec_lo, s0
	.loc	1 69 43                         ; persistent_matmul.py:69:43
	s_and_b32 s1, s4, s10
	.loc	1 74 25                         ; persistent_matmul.py:74:25
	s_and_saveexec_b32 s0, s1
	s_cbranch_execz .LBB0_147
.LBB0_162:                              ;   in Loop: Header=BB0_5 Depth=1
	.loc	1 73 31                         ; persistent_matmul.py:73:31
	v_bfe_u32 v32, v26, 16, 1
	s_delay_alu instid0(VALU_DEP_1) | instskip(SKIP_1) | instid1(VALU_DEP_2)
	v_add3_u32 v34, v26, v32, 0x7fff
	.loc	1 68 56                         ; persistent_matmul.py:68:56
	v_lshlrev_b64 v[32:33], 1, v[52:53]
	.loc	1 73 31                         ; persistent_matmul.py:73:31
	v_lshrrev_b32_e32 v34, 16, v34
	s_delay_alu instid0(VALU_DEP_2) | instskip(NEXT) | instid1(VALU_DEP_1)
	.loc	1 68 56                         ; persistent_matmul.py:68:56
	v_add_co_u32 v32, vcc_lo, v64, v32
	v_add_co_ci_u32_e64 v33, null, v65, v33, vcc_lo
	.loc	1 73 31                         ; persistent_matmul.py:73:31
	v_cmp_o_f32_e32 vcc_lo, v26, v26
	s_delay_alu instid0(VALU_DEP_4) | instskip(SKIP_3) | instid1(SALU_CYCLE_1)
	v_cndmask_b32_e32 v34, 0x7fff, v34, vcc_lo
	.loc	1 74 25                         ; persistent_matmul.py:74:25
	global_store_b16 v[32:33], v34, off
	s_or_b32 exec_lo, exec_lo, s0
	.loc	1 69 43                         ; persistent_matmul.py:69:43
	s_and_b32 s1, s4, s11
	.loc	1 74 25                         ; persistent_matmul.py:74:25
	s_and_saveexec_b32 s0, s1
	s_cbranch_execz .LBB0_148
.LBB0_163:                              ;   in Loop: Header=BB0_5 Depth=1
	.loc	1 73 31                         ; persistent_matmul.py:73:31
	v_bfe_u32 v32, v27, 16, 1
	s_delay_alu instid0(VALU_DEP_1) | instskip(SKIP_1) | instid1(VALU_DEP_2)
	v_add3_u32 v34, v27, v32, 0x7fff
	.loc	1 68 56                         ; persistent_matmul.py:68:56
	v_lshlrev_b64 v[32:33], 1, v[54:55]
	.loc	1 73 31                         ; persistent_matmul.py:73:31
	v_lshrrev_b32_e32 v34, 16, v34
	s_delay_alu instid0(VALU_DEP_2) | instskip(NEXT) | instid1(VALU_DEP_1)
	.loc	1 68 56                         ; persistent_matmul.py:68:56
	v_add_co_u32 v32, vcc_lo, v64, v32
	v_add_co_ci_u32_e64 v33, null, v65, v33, vcc_lo
	.loc	1 73 31                         ; persistent_matmul.py:73:31
	v_cmp_o_f32_e32 vcc_lo, v27, v27
	s_delay_alu instid0(VALU_DEP_4) | instskip(SKIP_3) | instid1(SALU_CYCLE_1)
	v_cndmask_b32_e32 v34, 0x7fff, v34, vcc_lo
	.loc	1 74 25                         ; persistent_matmul.py:74:25
	global_store_b16 v[32:33], v34, off
	s_or_b32 exec_lo, exec_lo, s0
	.loc	1 69 43                         ; persistent_matmul.py:69:43
	s_and_b32 s1, s4, s12
	.loc	1 74 25                         ; persistent_matmul.py:74:25
	s_and_saveexec_b32 s0, s1
	s_cbranch_execz .LBB0_149
.LBB0_164:                              ;   in Loop: Header=BB0_5 Depth=1
	.loc	1 73 31                         ; persistent_matmul.py:73:31
	v_bfe_u32 v32, v28, 16, 1
	s_delay_alu instid0(VALU_DEP_1) | instskip(SKIP_1) | instid1(VALU_DEP_2)
	v_add3_u32 v34, v28, v32, 0x7fff
	.loc	1 68 56                         ; persistent_matmul.py:68:56
	v_lshlrev_b64 v[32:33], 1, v[56:57]
	.loc	1 73 31                         ; persistent_matmul.py:73:31
	v_lshrrev_b32_e32 v34, 16, v34
	s_delay_alu instid0(VALU_DEP_2) | instskip(NEXT) | instid1(VALU_DEP_1)
	.loc	1 68 56                         ; persistent_matmul.py:68:56
	v_add_co_u32 v32, vcc_lo, v64, v32
	v_add_co_ci_u32_e64 v33, null, v65, v33, vcc_lo
	.loc	1 73 31                         ; persistent_matmul.py:73:31
	v_cmp_o_f32_e32 vcc_lo, v28, v28
	s_delay_alu instid0(VALU_DEP_4) | instskip(SKIP_3) | instid1(SALU_CYCLE_1)
	v_cndmask_b32_e32 v34, 0x7fff, v34, vcc_lo
	.loc	1 74 25                         ; persistent_matmul.py:74:25
	global_store_b16 v[32:33], v34, off
	s_or_b32 exec_lo, exec_lo, s0
	.loc	1 69 43                         ; persistent_matmul.py:69:43
	s_and_b32 s1, s4, s13
	.loc	1 74 25                         ; persistent_matmul.py:74:25
	s_and_saveexec_b32 s0, s1
	s_cbranch_execz .LBB0_150
.LBB0_165:                              ;   in Loop: Header=BB0_5 Depth=1
	.loc	1 73 31                         ; persistent_matmul.py:73:31
	v_bfe_u32 v32, v29, 16, 1
	s_delay_alu instid0(VALU_DEP_1) | instskip(SKIP_1) | instid1(VALU_DEP_2)
	v_add3_u32 v34, v29, v32, 0x7fff
	.loc	1 68 56                         ; persistent_matmul.py:68:56
	v_lshlrev_b64 v[32:33], 1, v[58:59]
	.loc	1 73 31                         ; persistent_matmul.py:73:31
	v_lshrrev_b32_e32 v34, 16, v34
	s_delay_alu instid0(VALU_DEP_2) | instskip(NEXT) | instid1(VALU_DEP_1)
	.loc	1 68 56                         ; persistent_matmul.py:68:56
	v_add_co_u32 v32, vcc_lo, v64, v32
	v_add_co_ci_u32_e64 v33, null, v65, v33, vcc_lo
	.loc	1 73 31                         ; persistent_matmul.py:73:31
	v_cmp_o_f32_e32 vcc_lo, v29, v29
	s_delay_alu instid0(VALU_DEP_4) | instskip(SKIP_3) | instid1(SALU_CYCLE_1)
	v_cndmask_b32_e32 v34, 0x7fff, v34, vcc_lo
	.loc	1 74 25                         ; persistent_matmul.py:74:25
	global_store_b16 v[32:33], v34, off
	s_or_b32 exec_lo, exec_lo, s0
	.loc	1 69 43                         ; persistent_matmul.py:69:43
	s_and_b32 s1, s4, s14
	.loc	1 74 25                         ; persistent_matmul.py:74:25
	s_and_saveexec_b32 s0, s1
	s_cbranch_execz .LBB0_151
.LBB0_166:                              ;   in Loop: Header=BB0_5 Depth=1
	.loc	1 73 31                         ; persistent_matmul.py:73:31
	v_bfe_u32 v32, v30, 16, 1
	s_delay_alu instid0(VALU_DEP_1) | instskip(SKIP_1) | instid1(VALU_DEP_2)
	v_add3_u32 v34, v30, v32, 0x7fff
	.loc	1 68 56                         ; persistent_matmul.py:68:56
	v_lshlrev_b64 v[32:33], 1, v[60:61]
	.loc	1 73 31                         ; persistent_matmul.py:73:31
	v_lshrrev_b32_e32 v34, 16, v34
	s_delay_alu instid0(VALU_DEP_2) | instskip(NEXT) | instid1(VALU_DEP_1)
	.loc	1 68 56                         ; persistent_matmul.py:68:56
	v_add_co_u32 v32, vcc_lo, v64, v32
	v_add_co_ci_u32_e64 v33, null, v65, v33, vcc_lo
	.loc	1 73 31                         ; persistent_matmul.py:73:31
	v_cmp_o_f32_e32 vcc_lo, v30, v30
	s_delay_alu instid0(VALU_DEP_4) | instskip(SKIP_3) | instid1(SALU_CYCLE_1)
	v_cndmask_b32_e32 v34, 0x7fff, v34, vcc_lo
	.loc	1 74 25                         ; persistent_matmul.py:74:25
	global_store_b16 v[32:33], v34, off
	s_or_b32 exec_lo, exec_lo, s0
	.loc	1 69 43                         ; persistent_matmul.py:69:43
	s_and_b32 s1, s4, s16
	.loc	1 74 25                         ; persistent_matmul.py:74:25
	s_and_saveexec_b32 s0, s1
	s_cbranch_execz .LBB0_3
.LBB0_167:                              ;   in Loop: Header=BB0_5 Depth=1
	.loc	1 73 31                         ; persistent_matmul.py:73:31
	v_bfe_u32 v32, v31, 16, 1
	s_delay_alu instid0(VALU_DEP_1) | instskip(SKIP_1) | instid1(VALU_DEP_2)
	v_add3_u32 v34, v31, v32, 0x7fff
	.loc	1 68 56                         ; persistent_matmul.py:68:56
	v_lshlrev_b64 v[32:33], 1, v[62:63]
	.loc	1 73 31                         ; persistent_matmul.py:73:31
	v_lshrrev_b32_e32 v34, 16, v34
	s_delay_alu instid0(VALU_DEP_2) | instskip(NEXT) | instid1(VALU_DEP_1)
	.loc	1 68 56                         ; persistent_matmul.py:68:56
	v_add_co_u32 v32, vcc_lo, v64, v32
	v_add_co_ci_u32_e64 v33, null, v65, v33, vcc_lo
	.loc	1 73 31                         ; persistent_matmul.py:73:31
	v_cmp_o_f32_e32 vcc_lo, v31, v31
	s_delay_alu instid0(VALU_DEP_4)
	v_cndmask_b32_e32 v34, 0x7fff, v34, vcc_lo
	.loc	1 74 25                         ; persistent_matmul.py:74:25
	global_store_b16 v[32:33], v34, off
	s_branch .LBB0_3
.LBB0_168:                              ; %Flow244
	.loc	1 0 25 is_stmt 0                ; persistent_matmul.py:0:25
	s_mov_b32 s2, 0
.LBB0_169:                              ; %Flow247
	s_delay_alu instid0(SALU_CYCLE_1)
	s_and_not1_b32 vcc_lo, exec_lo, s2
	s_cbranch_vccnz .LBB0_237
; %bb.170:                              ; %.preheader
	.loc	1 43 59 is_stmt 1               ; persistent_matmul.py:43:59
	s_cmp_le_i32 s34, s15
	s_cbranch_scc1 .LBB0_237
; %bb.171:                              ; %.lr.ph4.preheader
	.loc	1 0 59 is_stmt 0                ; persistent_matmul.py:0:59
	s_abs_i32 s24, s35
	v_mov_b32_e32 v32, 0
	v_cvt_f32_u32_e32 v0, s24
	s_sub_i32 s1, 0, s24
	s_ashr_i32 s25, s35, 31
.Ltmp35:
	.loc	1 14 44 is_stmt 1               ; persistent_matmul.py:14:44 @[ persistent_matmul.py:65:90 ]
	s_sub_i32 s27, 0, s35
	s_delay_alu instid0(VALU_DEP_1) | instskip(SKIP_2) | instid1(VALU_DEP_1)
	v_rcp_iflag_f32_e32 v0, v0
	s_waitcnt_depctr depctr_va_vdst(0)
	v_mul_f32_e32 v0, 0x4f7ffffe, v0
	v_cvt_u32_f32_e32 v0, v0
	s_delay_alu instid0(VALU_DEP_1) | instskip(SKIP_1) | instid1(SALU_CYCLE_1)
	v_readfirstlane_b32 s0, v0
	s_mul_i32 s1, s1, s0
	s_mul_hi_u32 s1, s0, s1
	s_delay_alu instid0(SALU_CYCLE_1)
	s_add_i32 s26, s0, s1
	s_branch .LBB0_173
.Ltmp36:
.LBB0_172:                              ;   in Loop: Header=BB0_173 Depth=1
	.loc	1 0 44 is_stmt 0                ; persistent_matmul.py:0:44
	s_or_b32 exec_lo, exec_lo, s0
	.loc	1 43 59 is_stmt 1               ; persistent_matmul.py:43:59
	s_addk_i32 s15, 0x130
	s_delay_alu instid0(SALU_CYCLE_1)
	s_cmp_ge_i32 s15, s34
	s_cbranch_scc1 .LBB0_237
.LBB0_173:                              ; %.lr.ph4
                                        ; =>This Inner Loop Header: Depth=1
.Ltmp37:
	.loc	1 10 26                         ; persistent_matmul.py:10:26 @[ persistent_matmul.py:65:90 ]
	s_abs_i32 s0, s15
	s_ashr_i32 s2, s15, 31
	s_mul_hi_u32 s1, s0, s26
	s_xor_b32 s4, s2, s25
	s_mul_i32 s3, s1, s24
	s_add_i32 s5, s1, 1
	s_sub_i32 s3, s0, s3
	s_delay_alu instid0(SALU_CYCLE_1)
	s_sub_i32 s6, s3, s24
	s_cmp_ge_u32 s3, s24
	s_cselect_b32 s1, s5, s1
	s_cselect_b32 s3, s6, s3
	s_add_i32 s5, s1, 1
	s_cmp_ge_u32 s3, s24
	s_cselect_b32 s1, s5, s1
	s_delay_alu instid0(SALU_CYCLE_1) | instskip(NEXT) | instid1(SALU_CYCLE_1)
	s_xor_b32 s1, s1, s4
	s_sub_i32 s1, s1, s4
	s_delay_alu instid0(SALU_CYCLE_1) | instskip(SKIP_4) | instid1(SALU_CYCLE_1)
	.loc	1 11 29                         ; persistent_matmul.py:11:29 @[ persistent_matmul.py:65:90 ]
	s_lshl_b32 s3, s1, 2
	.loc	1 14 44                         ; persistent_matmul.py:14:44 @[ persistent_matmul.py:65:90 ]
	s_mul_i32 s8, s27, s1
	.loc	1 12 35                         ; persistent_matmul.py:12:35 @[ persistent_matmul.py:65:90 ]
	s_sub_i32 s4, s33, s3
	.loc	1 14 23                         ; persistent_matmul.py:14:23 @[ persistent_matmul.py:65:90 ]
	s_mul_i32 s1, s1, s35
	.loc	1 12 48                         ; persistent_matmul.py:12:48 @[ persistent_matmul.py:65:90 ]
	s_min_i32 s4, s4, 4
	.loc	1 13 37                         ; persistent_matmul.py:13:37 @[ persistent_matmul.py:65:90 ]
	s_abs_i32 s5, s4
	s_ashr_i32 s4, s4, 31
	v_cvt_f32_u32_e32 v0, s5
	s_sub_i32 s7, 0, s5
	s_delay_alu instid0(VALU_DEP_1) | instskip(SKIP_2) | instid1(VALU_DEP_1)
	v_rcp_iflag_f32_e32 v0, v0
	s_waitcnt_depctr depctr_va_vdst(0)
	v_mul_f32_e32 v0, 0x4f7ffffe, v0
	v_cvt_u32_f32_e32 v0, v0
	s_delay_alu instid0(VALU_DEP_1) | instskip(SKIP_1) | instid1(SALU_CYCLE_1)
	v_readfirstlane_b32 s6, v0
	s_mul_i32 s7, s7, s6
	s_mul_hi_u32 s7, s6, s7
	s_delay_alu instid0(SALU_CYCLE_1) | instskip(NEXT) | instid1(SALU_CYCLE_1)
	s_add_i32 s6, s6, s7
	s_mul_hi_u32 s7, s0, s6
	s_delay_alu instid0(SALU_CYCLE_1) | instskip(NEXT) | instid1(SALU_CYCLE_1)
	s_mul_i32 s7, s7, s5
	s_sub_i32 s0, s0, s7
	s_delay_alu instid0(SALU_CYCLE_1) | instskip(SKIP_2) | instid1(SALU_CYCLE_1)
	s_sub_i32 s7, s0, s5
	s_cmp_ge_u32 s0, s5
	s_cselect_b32 s0, s7, s0
	s_sub_i32 s7, s0, s5
	s_cmp_ge_u32 s0, s5
	s_cselect_b32 s0, s7, s0
	.loc	1 14 44                         ; persistent_matmul.py:14:44 @[ persistent_matmul.py:65:90 ]
	s_add_i32 s7, s15, s8
	.loc	1 13 37                         ; persistent_matmul.py:13:37 @[ persistent_matmul.py:65:90 ]
	s_xor_b32 s0, s0, s2
	.loc	1 14 44                         ; persistent_matmul.py:14:44 @[ persistent_matmul.py:65:90 ]
	s_ashr_i32 s7, s7, 31
	.loc	1 13 37                         ; persistent_matmul.py:13:37 @[ persistent_matmul.py:65:90 ]
	s_sub_i32 s0, s0, s2
	.loc	1 14 44                         ; persistent_matmul.py:14:44 @[ persistent_matmul.py:65:90 ]
	s_sub_i32 s1, s7, s1
	.loc	1 13 27                         ; persistent_matmul.py:13:27 @[ persistent_matmul.py:65:90 ]
	s_add_i32 s3, s3, s0
	.loc	1 14 44                         ; persistent_matmul.py:14:44 @[ persistent_matmul.py:65:90 ]
	s_add_i32 s1, s15, s1
	s_xor_b32 s4, s7, s4
	s_xor_b32 s1, s1, s7
	s_delay_alu instid0(SALU_CYCLE_1) | instskip(NEXT) | instid1(SALU_CYCLE_1)
	s_mul_hi_u32 s2, s1, s6
	s_mul_i32 s6, s2, s5
	s_delay_alu instid0(SALU_CYCLE_1)
	s_sub_i32 s0, s1, s6
	s_add_i32 s1, s2, 1
	s_sub_i32 s6, s0, s5
	s_cmp_ge_u32 s0, s5
	s_cselect_b32 s1, s1, s2
	s_cselect_b32 s0, s6, s0
	s_add_i32 s2, s1, 1
	s_cmp_ge_u32 s0, s5
	s_cselect_b32 s0, s2, s1
.Ltmp38:
	.loc	1 66 26                         ; persistent_matmul.py:66:26
	s_lshl_b32 s17, s3, 7
.Ltmp39:
	.loc	1 14 44                         ; persistent_matmul.py:14:44 @[ persistent_matmul.py:65:90 ]
	s_xor_b32 s0, s0, s4
.Ltmp40:
	.loc	1 66 41                         ; persistent_matmul.py:66:41
	v_or_b32_e32 v3, s17, v109
.Ltmp41:
	.loc	1 14 44                         ; persistent_matmul.py:14:44 @[ persistent_matmul.py:65:90 ]
	s_sub_i32 s0, s0, s4
	s_delay_alu instid0(SALU_CYCLE_1) | instskip(NEXT) | instid1(VALU_DEP_1)
.Ltmp42:
	.loc	1 67 26                         ; persistent_matmul.py:67:26
	s_lshl_b32 s28, s0, 6
	.loc	1 68 37                         ; persistent_matmul.py:68:37
	v_mul_lo_u32 v0, v3, s18
	.loc	1 67 41                         ; persistent_matmul.py:67:41
	v_or_b32_e32 v4, s28, v97
	.loc	1 69 37                         ; persistent_matmul.py:69:37
	v_cmp_gt_i32_e64 s3, s22, v3
	s_delay_alu instid0(VALU_DEP_2) | instskip(NEXT) | instid1(VALU_DEP_4)
	.loc	1 69 62 is_stmt 0               ; persistent_matmul.py:69:62
	v_cmp_gt_i32_e32 vcc_lo, s23, v4
	.loc	1 68 25 is_stmt 1               ; persistent_matmul.py:68:25
	v_ashrrev_i32_e32 v1, 31, v0
	s_delay_alu instid0(VALU_DEP_1) | instskip(SKIP_1) | instid1(VALU_DEP_2)
	v_lshlrev_b64 v[1:2], 1, v[0:1]
	.loc	1 68 68 is_stmt 0               ; persistent_matmul.py:68:68
	v_mul_lo_u32 v0, v4, s19
	.loc	1 68 25                         ; persistent_matmul.py:68:25
	v_add_co_u32 v33, s0, s20, v1
	s_delay_alu instid0(VALU_DEP_1) | instskip(NEXT) | instid1(VALU_DEP_3)
	v_add_co_ci_u32_e64 v34, null, s21, v2, s0
	.loc	1 68 56                         ; persistent_matmul.py:68:56
	v_ashrrev_i32_e32 v1, 31, v0
	.loc	1 69 43 is_stmt 1               ; persistent_matmul.py:69:43
	s_and_b32 s0, s3, vcc_lo
	s_delay_alu instid0(SALU_CYCLE_1)
	.loc	1 74 25                         ; persistent_matmul.py:74:25
	s_and_saveexec_b32 s1, s0
	s_cbranch_execz .LBB0_175
; %bb.174:                              ;   in Loop: Header=BB0_173 Depth=1
	.loc	1 0 25 is_stmt 0                ; persistent_matmul.py:0:25
	s_delay_alu instid0(VALU_DEP_1) | instskip(NEXT) | instid1(VALU_DEP_1)
	v_lshlrev_b64 v[2:3], 1, v[0:1]
	v_add_co_u32 v2, s0, v33, v2
	s_delay_alu instid0(VALU_DEP_1)
	v_add_co_ci_u32_e64 v3, null, v34, v3, s0
	.loc	1 74 25                         ; persistent_matmul.py:74:25
	global_store_b16 v[2:3], v32, off
.LBB0_175:                              ;   in Loop: Header=BB0_173 Depth=1
	.loc	1 0 25                          ; persistent_matmul.py:0:25
	s_or_b32 exec_lo, exec_lo, s1
	.loc	1 67 41 is_stmt 1               ; persistent_matmul.py:67:41
	v_or_b32_e32 v3, s28, v98
	s_delay_alu instid0(VALU_DEP_1)
	.loc	1 68 68                         ; persistent_matmul.py:68:68
	v_mul_lo_u32 v2, v3, s19
	.loc	1 69 62                         ; persistent_matmul.py:69:62
	v_cmp_gt_i32_e64 s0, s23, v3
	.loc	1 69 43 is_stmt 0               ; persistent_matmul.py:69:43
	s_and_b32 s1, s3, s0
	.loc	1 68 56 is_stmt 1               ; persistent_matmul.py:68:56
	v_ashrrev_i32_e32 v3, 31, v2
	.loc	1 74 25                         ; persistent_matmul.py:74:25
	s_and_saveexec_b32 s2, s1
	s_cbranch_execz .LBB0_177
; %bb.176:                              ;   in Loop: Header=BB0_173 Depth=1
	.loc	1 0 25 is_stmt 0                ; persistent_matmul.py:0:25
	s_delay_alu instid0(VALU_DEP_1) | instskip(NEXT) | instid1(VALU_DEP_1)
	.loc	1 68 56 is_stmt 1               ; persistent_matmul.py:68:56
	v_lshlrev_b64 v[4:5], 1, v[2:3]
	v_add_co_u32 v4, s1, v33, v4
	s_delay_alu instid0(VALU_DEP_1)
	v_add_co_ci_u32_e64 v5, null, v34, v5, s1
	.loc	1 74 25                         ; persistent_matmul.py:74:25
	global_store_b16 v[4:5], v32, off
.LBB0_177:                              ;   in Loop: Header=BB0_173 Depth=1
	.loc	1 0 25 is_stmt 0                ; persistent_matmul.py:0:25
	s_or_b32 exec_lo, exec_lo, s2
	.loc	1 67 41 is_stmt 1               ; persistent_matmul.py:67:41
	v_or_b32_e32 v5, s28, v99
	s_delay_alu instid0(VALU_DEP_1)
	.loc	1 68 68                         ; persistent_matmul.py:68:68
	v_mul_lo_u32 v4, v5, s19
	.loc	1 69 62                         ; persistent_matmul.py:69:62
	v_cmp_gt_i32_e64 s1, s23, v5
	.loc	1 69 43 is_stmt 0               ; persistent_matmul.py:69:43
	s_and_b32 s2, s3, s1
	.loc	1 68 56 is_stmt 1               ; persistent_matmul.py:68:56
	v_ashrrev_i32_e32 v5, 31, v4
	.loc	1 74 25                         ; persistent_matmul.py:74:25
	s_and_saveexec_b32 s4, s2
	s_cbranch_execz .LBB0_179
; %bb.178:                              ;   in Loop: Header=BB0_173 Depth=1
	.loc	1 0 25 is_stmt 0                ; persistent_matmul.py:0:25
	s_delay_alu instid0(VALU_DEP_1) | instskip(NEXT) | instid1(VALU_DEP_1)
	.loc	1 68 56 is_stmt 1               ; persistent_matmul.py:68:56
	v_lshlrev_b64 v[6:7], 1, v[4:5]
	v_add_co_u32 v6, s2, v33, v6
	s_delay_alu instid0(VALU_DEP_1)
	v_add_co_ci_u32_e64 v7, null, v34, v7, s2
	.loc	1 74 25                         ; persistent_matmul.py:74:25
	global_store_b16 v[6:7], v32, off
.LBB0_179:                              ;   in Loop: Header=BB0_173 Depth=1
	.loc	1 0 25 is_stmt 0                ; persistent_matmul.py:0:25
	;; [unrolled: 27-line block ×15, first 2 shown]
	s_or_b32 exec_lo, exec_lo, s28
	.loc	1 66 41 is_stmt 1               ; persistent_matmul.py:66:41
	v_or_b32_e32 v35, s17, v114
	s_delay_alu instid0(VALU_DEP_1) | instskip(SKIP_3) | instid1(VALU_DEP_1)
	.loc	1 68 37                         ; persistent_matmul.py:68:37
	v_mul_lo_u32 v33, v35, s18
	.loc	1 69 37                         ; persistent_matmul.py:69:37
	v_cmp_gt_i32_e64 s3, s22, v35
	.loc	1 69 43 is_stmt 0               ; persistent_matmul.py:69:43
	s_and_b32 s28, s3, vcc_lo
	.loc	1 68 25 is_stmt 1               ; persistent_matmul.py:68:25
	v_ashrrev_i32_e32 v34, 31, v33
	v_lshlrev_b64 v[33:34], 1, v[33:34]
	s_delay_alu instid0(VALU_DEP_1) | instskip(NEXT) | instid1(VALU_DEP_1)
	v_add_co_u32 v33, s17, s20, v33
	v_add_co_ci_u32_e64 v34, null, s21, v34, s17
	.loc	1 74 25                         ; persistent_matmul.py:74:25
	s_and_saveexec_b32 s17, s28
	s_cbranch_execnz .LBB0_221
; %bb.206:                              ;   in Loop: Header=BB0_173 Depth=1
	.loc	1 0 25 is_stmt 0                ; persistent_matmul.py:0:25
	s_or_b32 exec_lo, exec_lo, s17
	.loc	1 69 43 is_stmt 1               ; persistent_matmul.py:69:43
	s_and_b32 s17, s3, s0
	s_delay_alu instid0(SALU_CYCLE_1)
	.loc	1 74 25                         ; persistent_matmul.py:74:25
	s_and_saveexec_b32 s0, s17
	s_cbranch_execnz .LBB0_222
.LBB0_207:                              ;   in Loop: Header=BB0_173 Depth=1
	.loc	1 0 25 is_stmt 0                ; persistent_matmul.py:0:25
	s_or_b32 exec_lo, exec_lo, s0
	.loc	1 69 43 is_stmt 1               ; persistent_matmul.py:69:43
	s_and_b32 s1, s3, s1
	s_delay_alu instid0(SALU_CYCLE_1)
	.loc	1 74 25                         ; persistent_matmul.py:74:25
	s_and_saveexec_b32 s0, s1
	s_cbranch_execnz .LBB0_223
.LBB0_208:                              ;   in Loop: Header=BB0_173 Depth=1
	.loc	1 0 25 is_stmt 0                ; persistent_matmul.py:0:25
	s_or_b32 exec_lo, exec_lo, s0
	.loc	1 69 43 is_stmt 1               ; persistent_matmul.py:69:43
	s_and_b32 s1, s3, s2
	s_delay_alu instid0(SALU_CYCLE_1)
	.loc	1 74 25                         ; persistent_matmul.py:74:25
	s_and_saveexec_b32 s0, s1
	s_cbranch_execnz .LBB0_224
.LBB0_209:                              ;   in Loop: Header=BB0_173 Depth=1
	.loc	1 0 25 is_stmt 0                ; persistent_matmul.py:0:25
	s_or_b32 exec_lo, exec_lo, s0
	.loc	1 69 43 is_stmt 1               ; persistent_matmul.py:69:43
	s_and_b32 s1, s3, s4
	s_delay_alu instid0(SALU_CYCLE_1)
	.loc	1 74 25                         ; persistent_matmul.py:74:25
	s_and_saveexec_b32 s0, s1
	s_cbranch_execnz .LBB0_225
.LBB0_210:                              ;   in Loop: Header=BB0_173 Depth=1
	.loc	1 0 25 is_stmt 0                ; persistent_matmul.py:0:25
	s_or_b32 exec_lo, exec_lo, s0
	.loc	1 69 43 is_stmt 1               ; persistent_matmul.py:69:43
	s_and_b32 s1, s3, s5
	s_delay_alu instid0(SALU_CYCLE_1)
	.loc	1 74 25                         ; persistent_matmul.py:74:25
	s_and_saveexec_b32 s0, s1
	s_cbranch_execnz .LBB0_226
.LBB0_211:                              ;   in Loop: Header=BB0_173 Depth=1
	.loc	1 0 25 is_stmt 0                ; persistent_matmul.py:0:25
	s_or_b32 exec_lo, exec_lo, s0
	.loc	1 69 43 is_stmt 1               ; persistent_matmul.py:69:43
	s_and_b32 s1, s3, s6
	s_delay_alu instid0(SALU_CYCLE_1)
	.loc	1 74 25                         ; persistent_matmul.py:74:25
	s_and_saveexec_b32 s0, s1
	s_cbranch_execnz .LBB0_227
.LBB0_212:                              ;   in Loop: Header=BB0_173 Depth=1
	.loc	1 0 25 is_stmt 0                ; persistent_matmul.py:0:25
	s_or_b32 exec_lo, exec_lo, s0
	.loc	1 69 43 is_stmt 1               ; persistent_matmul.py:69:43
	s_and_b32 s1, s3, s7
	s_delay_alu instid0(SALU_CYCLE_1)
	.loc	1 74 25                         ; persistent_matmul.py:74:25
	s_and_saveexec_b32 s0, s1
	s_cbranch_execnz .LBB0_228
.LBB0_213:                              ;   in Loop: Header=BB0_173 Depth=1
	.loc	1 0 25 is_stmt 0                ; persistent_matmul.py:0:25
	s_or_b32 exec_lo, exec_lo, s0
	.loc	1 69 43 is_stmt 1               ; persistent_matmul.py:69:43
	s_and_b32 s1, s3, s8
	s_delay_alu instid0(SALU_CYCLE_1)
	.loc	1 74 25                         ; persistent_matmul.py:74:25
	s_and_saveexec_b32 s0, s1
	s_cbranch_execnz .LBB0_229
.LBB0_214:                              ;   in Loop: Header=BB0_173 Depth=1
	.loc	1 0 25 is_stmt 0                ; persistent_matmul.py:0:25
	s_or_b32 exec_lo, exec_lo, s0
	.loc	1 69 43 is_stmt 1               ; persistent_matmul.py:69:43
	s_and_b32 s1, s3, s9
	s_delay_alu instid0(SALU_CYCLE_1)
	.loc	1 74 25                         ; persistent_matmul.py:74:25
	s_and_saveexec_b32 s0, s1
	s_cbranch_execnz .LBB0_230
.LBB0_215:                              ;   in Loop: Header=BB0_173 Depth=1
	.loc	1 0 25 is_stmt 0                ; persistent_matmul.py:0:25
	s_or_b32 exec_lo, exec_lo, s0
	.loc	1 69 43 is_stmt 1               ; persistent_matmul.py:69:43
	s_and_b32 s1, s3, s10
	s_delay_alu instid0(SALU_CYCLE_1)
	.loc	1 74 25                         ; persistent_matmul.py:74:25
	s_and_saveexec_b32 s0, s1
	s_cbranch_execnz .LBB0_231
.LBB0_216:                              ;   in Loop: Header=BB0_173 Depth=1
	.loc	1 0 25 is_stmt 0                ; persistent_matmul.py:0:25
	s_or_b32 exec_lo, exec_lo, s0
	.loc	1 69 43 is_stmt 1               ; persistent_matmul.py:69:43
	s_and_b32 s1, s3, s11
	s_delay_alu instid0(SALU_CYCLE_1)
	.loc	1 74 25                         ; persistent_matmul.py:74:25
	s_and_saveexec_b32 s0, s1
	s_cbranch_execnz .LBB0_232
.LBB0_217:                              ;   in Loop: Header=BB0_173 Depth=1
	.loc	1 0 25 is_stmt 0                ; persistent_matmul.py:0:25
	s_or_b32 exec_lo, exec_lo, s0
	.loc	1 69 43 is_stmt 1               ; persistent_matmul.py:69:43
	s_and_b32 s1, s3, s12
	s_delay_alu instid0(SALU_CYCLE_1)
	.loc	1 74 25                         ; persistent_matmul.py:74:25
	s_and_saveexec_b32 s0, s1
	s_cbranch_execnz .LBB0_233
.LBB0_218:                              ;   in Loop: Header=BB0_173 Depth=1
	.loc	1 0 25 is_stmt 0                ; persistent_matmul.py:0:25
	s_or_b32 exec_lo, exec_lo, s0
	.loc	1 69 43 is_stmt 1               ; persistent_matmul.py:69:43
	s_and_b32 s1, s3, s13
	s_delay_alu instid0(SALU_CYCLE_1)
	.loc	1 74 25                         ; persistent_matmul.py:74:25
	s_and_saveexec_b32 s0, s1
	s_cbranch_execnz .LBB0_234
.LBB0_219:                              ;   in Loop: Header=BB0_173 Depth=1
	.loc	1 0 25 is_stmt 0                ; persistent_matmul.py:0:25
	s_or_b32 exec_lo, exec_lo, s0
	.loc	1 69 43 is_stmt 1               ; persistent_matmul.py:69:43
	s_and_b32 s1, s3, s14
	s_delay_alu instid0(SALU_CYCLE_1)
	.loc	1 74 25                         ; persistent_matmul.py:74:25
	s_and_saveexec_b32 s0, s1
	s_cbranch_execnz .LBB0_235
.LBB0_220:                              ;   in Loop: Header=BB0_173 Depth=1
	.loc	1 0 25 is_stmt 0                ; persistent_matmul.py:0:25
	s_or_b32 exec_lo, exec_lo, s0
	.loc	1 69 43 is_stmt 1               ; persistent_matmul.py:69:43
	s_and_b32 s1, s3, s16
	s_delay_alu instid0(SALU_CYCLE_1)
	.loc	1 74 25                         ; persistent_matmul.py:74:25
	s_and_saveexec_b32 s0, s1
	s_cbranch_execz .LBB0_172
	s_branch .LBB0_236
.LBB0_221:                              ;   in Loop: Header=BB0_173 Depth=1
	.loc	1 68 56                         ; persistent_matmul.py:68:56
	v_lshlrev_b64 v[0:1], 1, v[0:1]
	s_delay_alu instid0(VALU_DEP_1) | instskip(NEXT) | instid1(VALU_DEP_1)
	v_add_co_u32 v0, vcc_lo, v33, v0
	v_add_co_ci_u32_e64 v1, null, v34, v1, vcc_lo
	.loc	1 74 25                         ; persistent_matmul.py:74:25
	global_store_b16 v[0:1], v32, off
	s_or_b32 exec_lo, exec_lo, s17
	.loc	1 69 43                         ; persistent_matmul.py:69:43
	s_and_b32 s17, s3, s0
	s_delay_alu instid0(SALU_CYCLE_1)
	.loc	1 74 25                         ; persistent_matmul.py:74:25
	s_and_saveexec_b32 s0, s17
	s_cbranch_execz .LBB0_207
.LBB0_222:                              ;   in Loop: Header=BB0_173 Depth=1
	.loc	1 68 56                         ; persistent_matmul.py:68:56
	v_lshlrev_b64 v[0:1], 1, v[2:3]
	s_delay_alu instid0(VALU_DEP_1) | instskip(NEXT) | instid1(VALU_DEP_1)
	v_add_co_u32 v0, vcc_lo, v33, v0
	v_add_co_ci_u32_e64 v1, null, v34, v1, vcc_lo
	.loc	1 74 25                         ; persistent_matmul.py:74:25
	global_store_b16 v[0:1], v32, off
	s_or_b32 exec_lo, exec_lo, s0
	.loc	1 69 43                         ; persistent_matmul.py:69:43
	s_and_b32 s1, s3, s1
	s_delay_alu instid0(SALU_CYCLE_1)
	.loc	1 74 25                         ; persistent_matmul.py:74:25
	s_and_saveexec_b32 s0, s1
	s_cbranch_execz .LBB0_208
.LBB0_223:                              ;   in Loop: Header=BB0_173 Depth=1
	.loc	1 68 56                         ; persistent_matmul.py:68:56
	v_lshlrev_b64 v[0:1], 1, v[4:5]
	s_delay_alu instid0(VALU_DEP_1) | instskip(NEXT) | instid1(VALU_DEP_1)
	v_add_co_u32 v0, vcc_lo, v33, v0
	v_add_co_ci_u32_e64 v1, null, v34, v1, vcc_lo
	.loc	1 74 25                         ; persistent_matmul.py:74:25
	global_store_b16 v[0:1], v32, off
	s_or_b32 exec_lo, exec_lo, s0
	.loc	1 69 43                         ; persistent_matmul.py:69:43
	s_and_b32 s1, s3, s2
	s_delay_alu instid0(SALU_CYCLE_1)
	.loc	1 74 25                         ; persistent_matmul.py:74:25
	s_and_saveexec_b32 s0, s1
	s_cbranch_execz .LBB0_209
.LBB0_224:                              ;   in Loop: Header=BB0_173 Depth=1
	.loc	1 68 56                         ; persistent_matmul.py:68:56
	v_lshlrev_b64 v[0:1], 1, v[6:7]
	s_delay_alu instid0(VALU_DEP_1) | instskip(NEXT) | instid1(VALU_DEP_1)
	v_add_co_u32 v0, vcc_lo, v33, v0
	v_add_co_ci_u32_e64 v1, null, v34, v1, vcc_lo
	.loc	1 74 25                         ; persistent_matmul.py:74:25
	global_store_b16 v[0:1], v32, off
	s_or_b32 exec_lo, exec_lo, s0
	.loc	1 69 43                         ; persistent_matmul.py:69:43
	s_and_b32 s1, s3, s4
	s_delay_alu instid0(SALU_CYCLE_1)
	.loc	1 74 25                         ; persistent_matmul.py:74:25
	s_and_saveexec_b32 s0, s1
	s_cbranch_execz .LBB0_210
.LBB0_225:                              ;   in Loop: Header=BB0_173 Depth=1
	.loc	1 68 56                         ; persistent_matmul.py:68:56
	v_lshlrev_b64 v[0:1], 1, v[8:9]
	s_delay_alu instid0(VALU_DEP_1) | instskip(NEXT) | instid1(VALU_DEP_1)
	v_add_co_u32 v0, vcc_lo, v33, v0
	v_add_co_ci_u32_e64 v1, null, v34, v1, vcc_lo
	.loc	1 74 25                         ; persistent_matmul.py:74:25
	global_store_b16 v[0:1], v32, off
	s_or_b32 exec_lo, exec_lo, s0
	.loc	1 69 43                         ; persistent_matmul.py:69:43
	s_and_b32 s1, s3, s5
	s_delay_alu instid0(SALU_CYCLE_1)
	.loc	1 74 25                         ; persistent_matmul.py:74:25
	s_and_saveexec_b32 s0, s1
	s_cbranch_execz .LBB0_211
.LBB0_226:                              ;   in Loop: Header=BB0_173 Depth=1
	.loc	1 68 56                         ; persistent_matmul.py:68:56
	v_lshlrev_b64 v[0:1], 1, v[10:11]
	s_delay_alu instid0(VALU_DEP_1) | instskip(NEXT) | instid1(VALU_DEP_1)
	v_add_co_u32 v0, vcc_lo, v33, v0
	v_add_co_ci_u32_e64 v1, null, v34, v1, vcc_lo
	.loc	1 74 25                         ; persistent_matmul.py:74:25
	global_store_b16 v[0:1], v32, off
	s_or_b32 exec_lo, exec_lo, s0
	.loc	1 69 43                         ; persistent_matmul.py:69:43
	s_and_b32 s1, s3, s6
	s_delay_alu instid0(SALU_CYCLE_1)
	.loc	1 74 25                         ; persistent_matmul.py:74:25
	s_and_saveexec_b32 s0, s1
	s_cbranch_execz .LBB0_212
.LBB0_227:                              ;   in Loop: Header=BB0_173 Depth=1
	.loc	1 68 56                         ; persistent_matmul.py:68:56
	v_lshlrev_b64 v[0:1], 1, v[12:13]
	s_delay_alu instid0(VALU_DEP_1) | instskip(NEXT) | instid1(VALU_DEP_1)
	v_add_co_u32 v0, vcc_lo, v33, v0
	v_add_co_ci_u32_e64 v1, null, v34, v1, vcc_lo
	.loc	1 74 25                         ; persistent_matmul.py:74:25
	global_store_b16 v[0:1], v32, off
	s_or_b32 exec_lo, exec_lo, s0
	.loc	1 69 43                         ; persistent_matmul.py:69:43
	s_and_b32 s1, s3, s7
	s_delay_alu instid0(SALU_CYCLE_1)
	.loc	1 74 25                         ; persistent_matmul.py:74:25
	s_and_saveexec_b32 s0, s1
	s_cbranch_execz .LBB0_213
.LBB0_228:                              ;   in Loop: Header=BB0_173 Depth=1
	.loc	1 68 56                         ; persistent_matmul.py:68:56
	v_lshlrev_b64 v[0:1], 1, v[14:15]
	s_delay_alu instid0(VALU_DEP_1) | instskip(NEXT) | instid1(VALU_DEP_1)
	v_add_co_u32 v0, vcc_lo, v33, v0
	v_add_co_ci_u32_e64 v1, null, v34, v1, vcc_lo
	.loc	1 74 25                         ; persistent_matmul.py:74:25
	global_store_b16 v[0:1], v32, off
	s_or_b32 exec_lo, exec_lo, s0
	.loc	1 69 43                         ; persistent_matmul.py:69:43
	s_and_b32 s1, s3, s8
	s_delay_alu instid0(SALU_CYCLE_1)
	.loc	1 74 25                         ; persistent_matmul.py:74:25
	s_and_saveexec_b32 s0, s1
	s_cbranch_execz .LBB0_214
.LBB0_229:                              ;   in Loop: Header=BB0_173 Depth=1
	.loc	1 68 56                         ; persistent_matmul.py:68:56
	v_lshlrev_b64 v[0:1], 1, v[16:17]
	s_delay_alu instid0(VALU_DEP_1) | instskip(NEXT) | instid1(VALU_DEP_1)
	v_add_co_u32 v0, vcc_lo, v33, v0
	v_add_co_ci_u32_e64 v1, null, v34, v1, vcc_lo
	.loc	1 74 25                         ; persistent_matmul.py:74:25
	global_store_b16 v[0:1], v32, off
	s_or_b32 exec_lo, exec_lo, s0
	.loc	1 69 43                         ; persistent_matmul.py:69:43
	s_and_b32 s1, s3, s9
	s_delay_alu instid0(SALU_CYCLE_1)
	.loc	1 74 25                         ; persistent_matmul.py:74:25
	s_and_saveexec_b32 s0, s1
	s_cbranch_execz .LBB0_215
.LBB0_230:                              ;   in Loop: Header=BB0_173 Depth=1
	.loc	1 68 56                         ; persistent_matmul.py:68:56
	v_lshlrev_b64 v[0:1], 1, v[18:19]
	s_delay_alu instid0(VALU_DEP_1) | instskip(NEXT) | instid1(VALU_DEP_1)
	v_add_co_u32 v0, vcc_lo, v33, v0
	v_add_co_ci_u32_e64 v1, null, v34, v1, vcc_lo
	.loc	1 74 25                         ; persistent_matmul.py:74:25
	global_store_b16 v[0:1], v32, off
	s_or_b32 exec_lo, exec_lo, s0
	.loc	1 69 43                         ; persistent_matmul.py:69:43
	s_and_b32 s1, s3, s10
	s_delay_alu instid0(SALU_CYCLE_1)
	.loc	1 74 25                         ; persistent_matmul.py:74:25
	s_and_saveexec_b32 s0, s1
	s_cbranch_execz .LBB0_216
.LBB0_231:                              ;   in Loop: Header=BB0_173 Depth=1
	.loc	1 68 56                         ; persistent_matmul.py:68:56
	v_lshlrev_b64 v[0:1], 1, v[20:21]
	s_delay_alu instid0(VALU_DEP_1) | instskip(NEXT) | instid1(VALU_DEP_1)
	v_add_co_u32 v0, vcc_lo, v33, v0
	v_add_co_ci_u32_e64 v1, null, v34, v1, vcc_lo
	.loc	1 74 25                         ; persistent_matmul.py:74:25
	global_store_b16 v[0:1], v32, off
	s_or_b32 exec_lo, exec_lo, s0
	.loc	1 69 43                         ; persistent_matmul.py:69:43
	s_and_b32 s1, s3, s11
	s_delay_alu instid0(SALU_CYCLE_1)
	.loc	1 74 25                         ; persistent_matmul.py:74:25
	s_and_saveexec_b32 s0, s1
	s_cbranch_execz .LBB0_217
.LBB0_232:                              ;   in Loop: Header=BB0_173 Depth=1
	.loc	1 68 56                         ; persistent_matmul.py:68:56
	v_lshlrev_b64 v[0:1], 1, v[22:23]
	s_delay_alu instid0(VALU_DEP_1) | instskip(NEXT) | instid1(VALU_DEP_1)
	v_add_co_u32 v0, vcc_lo, v33, v0
	v_add_co_ci_u32_e64 v1, null, v34, v1, vcc_lo
	.loc	1 74 25                         ; persistent_matmul.py:74:25
	global_store_b16 v[0:1], v32, off
	s_or_b32 exec_lo, exec_lo, s0
	.loc	1 69 43                         ; persistent_matmul.py:69:43
	s_and_b32 s1, s3, s12
	s_delay_alu instid0(SALU_CYCLE_1)
	.loc	1 74 25                         ; persistent_matmul.py:74:25
	s_and_saveexec_b32 s0, s1
	s_cbranch_execz .LBB0_218
.LBB0_233:                              ;   in Loop: Header=BB0_173 Depth=1
	.loc	1 68 56                         ; persistent_matmul.py:68:56
	v_lshlrev_b64 v[0:1], 1, v[24:25]
	s_delay_alu instid0(VALU_DEP_1) | instskip(NEXT) | instid1(VALU_DEP_1)
	v_add_co_u32 v0, vcc_lo, v33, v0
	v_add_co_ci_u32_e64 v1, null, v34, v1, vcc_lo
	.loc	1 74 25                         ; persistent_matmul.py:74:25
	global_store_b16 v[0:1], v32, off
	s_or_b32 exec_lo, exec_lo, s0
	.loc	1 69 43                         ; persistent_matmul.py:69:43
	s_and_b32 s1, s3, s13
	s_delay_alu instid0(SALU_CYCLE_1)
	.loc	1 74 25                         ; persistent_matmul.py:74:25
	s_and_saveexec_b32 s0, s1
	s_cbranch_execz .LBB0_219
.LBB0_234:                              ;   in Loop: Header=BB0_173 Depth=1
	.loc	1 68 56                         ; persistent_matmul.py:68:56
	v_lshlrev_b64 v[0:1], 1, v[26:27]
	s_delay_alu instid0(VALU_DEP_1) | instskip(NEXT) | instid1(VALU_DEP_1)
	v_add_co_u32 v0, vcc_lo, v33, v0
	v_add_co_ci_u32_e64 v1, null, v34, v1, vcc_lo
	.loc	1 74 25                         ; persistent_matmul.py:74:25
	global_store_b16 v[0:1], v32, off
	s_or_b32 exec_lo, exec_lo, s0
	.loc	1 69 43                         ; persistent_matmul.py:69:43
	s_and_b32 s1, s3, s14
	s_delay_alu instid0(SALU_CYCLE_1)
	.loc	1 74 25                         ; persistent_matmul.py:74:25
	s_and_saveexec_b32 s0, s1
	s_cbranch_execz .LBB0_220
.LBB0_235:                              ;   in Loop: Header=BB0_173 Depth=1
	.loc	1 68 56                         ; persistent_matmul.py:68:56
	v_lshlrev_b64 v[0:1], 1, v[28:29]
	s_delay_alu instid0(VALU_DEP_1) | instskip(NEXT) | instid1(VALU_DEP_1)
	v_add_co_u32 v0, vcc_lo, v33, v0
	v_add_co_ci_u32_e64 v1, null, v34, v1, vcc_lo
	.loc	1 74 25                         ; persistent_matmul.py:74:25
	global_store_b16 v[0:1], v32, off
	s_or_b32 exec_lo, exec_lo, s0
	.loc	1 69 43                         ; persistent_matmul.py:69:43
	s_and_b32 s1, s3, s16
	s_delay_alu instid0(SALU_CYCLE_1)
	.loc	1 74 25                         ; persistent_matmul.py:74:25
	s_and_saveexec_b32 s0, s1
	s_cbranch_execz .LBB0_172
.LBB0_236:                              ;   in Loop: Header=BB0_173 Depth=1
	.loc	1 68 56                         ; persistent_matmul.py:68:56
	v_lshlrev_b64 v[0:1], 1, v[30:31]
	s_delay_alu instid0(VALU_DEP_1) | instskip(NEXT) | instid1(VALU_DEP_1)
	v_add_co_u32 v0, vcc_lo, v33, v0
	v_add_co_ci_u32_e64 v1, null, v34, v1, vcc_lo
	.loc	1 74 25                         ; persistent_matmul.py:74:25
	global_store_b16 v[0:1], v32, off
	s_branch .LBB0_172
.LBB0_237:                              ; %.loopexit
	.loc	1 43 4                          ; persistent_matmul.py:43:4
	s_nop 0
	s_sendmsg sendmsg(MSG_DEALLOC_VGPRS)
	s_endpgm
.Ltmp43:
	.section	.rodata,"a",@progbits
	.p2align	6, 0x0
	.amdhsa_kernel matmul_kernel_persistent
		.amdhsa_group_segment_fixed_size 0
		.amdhsa_private_segment_fixed_size 0
		.amdhsa_kernarg_size 80
		.amdhsa_user_sgpr_count 15
		.amdhsa_user_sgpr_dispatch_ptr 0
		.amdhsa_user_sgpr_queue_ptr 0
		.amdhsa_user_sgpr_kernarg_segment_ptr 1
		.amdhsa_user_sgpr_dispatch_id 0
		.amdhsa_user_sgpr_private_segment_size 0
		.amdhsa_wavefront_size32 1
		.amdhsa_uses_dynamic_stack 0
		.amdhsa_enable_private_segment 0
		.amdhsa_system_sgpr_workgroup_id_x 1
		.amdhsa_system_sgpr_workgroup_id_y 0
		.amdhsa_system_sgpr_workgroup_id_z 0
		.amdhsa_system_sgpr_workgroup_info 0
		.amdhsa_system_vgpr_workitem_id 0
		.amdhsa_next_free_vgpr 245
		.amdhsa_next_free_sgpr 48
		.amdhsa_reserve_vcc 1
		.amdhsa_float_round_mode_32 0
		.amdhsa_float_round_mode_16_64 0
		.amdhsa_float_denorm_mode_32 3
		.amdhsa_float_denorm_mode_16_64 3
		.amdhsa_dx10_clamp 1
		.amdhsa_ieee_mode 1
		.amdhsa_fp16_overflow 0
		.amdhsa_workgroup_processor_mode 1
		.amdhsa_memory_ordered 1
		.amdhsa_forward_progress 1
		.amdhsa_shared_vgpr_count 0
		.amdhsa_inst_pref_size 63
		.amdhsa_exception_fp_ieee_invalid_op 0
		.amdhsa_exception_fp_denorm_src 0
		.amdhsa_exception_fp_ieee_div_zero 0
		.amdhsa_exception_fp_ieee_overflow 0
		.amdhsa_exception_fp_ieee_underflow 0
		.amdhsa_exception_fp_ieee_inexact 0
		.amdhsa_exception_int_div_zero 0
	.end_amdhsa_kernel
	.text
.Lfunc_end0:
	.size	matmul_kernel_persistent, .Lfunc_end0-matmul_kernel_persistent
	.cfi_endproc
                                        ; -- End function
	.set matmul_kernel_persistent.num_vgpr, 245
	.set matmul_kernel_persistent.num_agpr, 0
	.set matmul_kernel_persistent.numbered_sgpr, 48
	.set matmul_kernel_persistent.num_named_barrier, 0
	.set matmul_kernel_persistent.private_seg_size, 0
	.set matmul_kernel_persistent.uses_vcc, 1
	.set matmul_kernel_persistent.uses_flat_scratch, 0
	.set matmul_kernel_persistent.has_dyn_sized_stack, 0
	.set matmul_kernel_persistent.has_recursion, 0
	.set matmul_kernel_persistent.has_indirect_call, 0
	.section	.AMDGPU.csdata,"",@progbits
; Kernel info:
; codeLenInByte = 15156
; TotalNumSgprs: 50
; NumVgprs: 245
; ScratchSize: 0
; MemoryBound: 0
; FloatMode: 240
; IeeeMode: 1
; LDSByteSize: 0 bytes/workgroup (compile time only)
; SGPRBlocks: 0
; VGPRBlocks: 30
; NumSGPRsForWavesPerEU: 50
; NumVGPRsForWavesPerEU: 245
; Occupancy: 5
; WaveLimiterHint : 0
; COMPUTE_PGM_RSRC2:SCRATCH_EN: 0
; COMPUTE_PGM_RSRC2:USER_SGPR: 15
; COMPUTE_PGM_RSRC2:TRAP_HANDLER: 0
; COMPUTE_PGM_RSRC2:TGID_X_EN: 1
; COMPUTE_PGM_RSRC2:TGID_Y_EN: 0
; COMPUTE_PGM_RSRC2:TGID_Z_EN: 0
; COMPUTE_PGM_RSRC2:TIDIG_COMP_CNT: 0
	.text
	.p2alignl 7, 3214868480
	.fill 96, 4, 3214868480
	.section	.AMDGPU.gpr_maximums,"",@progbits
	.set amdgpu.max_num_vgpr, 0
	.set amdgpu.max_num_agpr, 0
	.set amdgpu.max_num_sgpr, 0
	.set amdgpu.max_num_named_barrier, 0
	.text
	.section	.debug_abbrev,"",@progbits
	.byte	1                               ; Abbreviation Code
	.byte	17                              ; DW_TAG_compile_unit
	.byte	1                               ; DW_CHILDREN_yes
	.byte	37                              ; DW_AT_producer
	.byte	14                              ; DW_FORM_strp
	.byte	19                              ; DW_AT_language
	.byte	5                               ; DW_FORM_data2
	.byte	3                               ; DW_AT_name
	.byte	14                              ; DW_FORM_strp
	.byte	16                              ; DW_AT_stmt_list
	.byte	23                              ; DW_FORM_sec_offset
	.byte	27                              ; DW_AT_comp_dir
	.byte	14                              ; DW_FORM_strp
	.byte	17                              ; DW_AT_low_pc
	.byte	1                               ; DW_FORM_addr
	.byte	18                              ; DW_AT_high_pc
	.byte	6                               ; DW_FORM_data4
	.byte	0                               ; EOM(1)
	.byte	0                               ; EOM(2)
	.byte	2                               ; Abbreviation Code
	.byte	46                              ; DW_TAG_subprogram
	.byte	0                               ; DW_CHILDREN_no
	.byte	3                               ; DW_AT_name
	.byte	14                              ; DW_FORM_strp
	.byte	32                              ; DW_AT_inline
	.byte	11                              ; DW_FORM_data1
	.byte	0                               ; EOM(1)
	.byte	0                               ; EOM(2)
	.byte	3                               ; Abbreviation Code
	.byte	46                              ; DW_TAG_subprogram
	.byte	1                               ; DW_CHILDREN_yes
	.byte	17                              ; DW_AT_low_pc
	.byte	1                               ; DW_FORM_addr
	.byte	18                              ; DW_AT_high_pc
	.byte	6                               ; DW_FORM_data4
	.byte	49                              ; DW_AT_abstract_origin
	.byte	19                              ; DW_FORM_ref4
	.byte	0                               ; EOM(1)
	.byte	0                               ; EOM(2)
	.byte	4                               ; Abbreviation Code
	.byte	29                              ; DW_TAG_inlined_subroutine
	.byte	0                               ; DW_CHILDREN_no
	.byte	49                              ; DW_AT_abstract_origin
	.byte	19                              ; DW_FORM_ref4
	.byte	85                              ; DW_AT_ranges
	.byte	23                              ; DW_FORM_sec_offset
	.byte	88                              ; DW_AT_call_file
	.byte	11                              ; DW_FORM_data1
	.byte	89                              ; DW_AT_call_line
	.byte	11                              ; DW_FORM_data1
	.byte	87                              ; DW_AT_call_column
	.byte	11                              ; DW_FORM_data1
	.byte	0                               ; EOM(1)
	.byte	0                               ; EOM(2)
	;; [unrolled: 1-line block ×3, first 2 shown]
	.section	.debug_info,"",@progbits
.Lcu_begin0:
	.long	.Ldebug_info_end0-.Ldebug_info_start0 ; Length of Unit
.Ldebug_info_start0:
	.short	4                               ; DWARF version number
	.long	.debug_abbrev                   ; Offset Into Abbrev. Section
	.byte	8                               ; Address Size (in bytes)
	.byte	1                               ; Abbrev [1] 0xb:0x74 DW_TAG_compile_unit
	.long	.Linfo_string0                  ; DW_AT_producer
	.short	2                               ; DW_AT_language
	.long	.Linfo_string1                  ; DW_AT_name
	.long	.Lline_table_start0             ; DW_AT_stmt_list
	.long	.Linfo_string2                  ; DW_AT_comp_dir
	.quad	.Lfunc_begin0                   ; DW_AT_low_pc
	.long	.Lfunc_end0-.Lfunc_begin0       ; DW_AT_high_pc
	.byte	2                               ; Abbrev [2] 0x2a:0x6 DW_TAG_subprogram
	.long	.Linfo_string3                  ; DW_AT_name
	.byte	1                               ; DW_AT_inline
	.byte	3                               ; Abbrev [3] 0x30:0x4e DW_TAG_subprogram
	.quad	.Lfunc_begin0                   ; DW_AT_low_pc
	.long	.Lfunc_end0-.Lfunc_begin0       ; DW_AT_high_pc
	.long	42                              ; DW_AT_abstract_origin
	.byte	4                               ; Abbrev [4] 0x41:0xc DW_TAG_inlined_subroutine
	.long	42                              ; DW_AT_abstract_origin
	.long	.Ldebug_ranges0                 ; DW_AT_ranges
	.byte	1                               ; DW_AT_call_file
	.byte	31                              ; DW_AT_call_line
	.byte	27                              ; DW_AT_call_column
	.byte	4                               ; Abbrev [4] 0x4d:0xc DW_TAG_inlined_subroutine
	.long	42                              ; DW_AT_abstract_origin
	.long	.Ldebug_ranges1                 ; DW_AT_ranges
	.byte	1                               ; DW_AT_call_file
	.byte	32                              ; DW_AT_call_line
	.byte	27                              ; DW_AT_call_column
	;; [unrolled: 6-line block ×5, first 2 shown]
	.byte	0                               ; End Of Children Mark
	.byte	0                               ; End Of Children Mark
.Ldebug_info_end0:
	.section	.debug_ranges,"",@progbits
.Ldebug_ranges0:
	.quad	.Ltmp1-.Lfunc_begin0
	.quad	.Ltmp2-.Lfunc_begin0
	;; [unrolled: 1-line block ×10, first 2 shown]
	.quad	0
	.quad	0
.Ldebug_ranges1:
	.quad	.Ltmp2-.Lfunc_begin0
	.quad	.Ltmp3-.Lfunc_begin0
	;; [unrolled: 1-line block ×10, first 2 shown]
	.quad	0
	.quad	0
.Ldebug_ranges2:
	.quad	.Ltmp13-.Lfunc_begin0
	.quad	.Ltmp14-.Lfunc_begin0
	;; [unrolled: 1-line block ×10, first 2 shown]
	.quad	0
	.quad	0
.Ldebug_ranges3:
	.quad	.Ltmp23-.Lfunc_begin0
	.quad	.Ltmp24-.Lfunc_begin0
	.quad	.Ltmp25-.Lfunc_begin0
	.quad	.Ltmp26-.Lfunc_begin0
	.quad	.Ltmp27-.Lfunc_begin0
	.quad	.Ltmp28-.Lfunc_begin0
	.quad	0
	.quad	0
.Ldebug_ranges4:
	.quad	.Ltmp29-.Lfunc_begin0
	.quad	.Ltmp30-.Lfunc_begin0
	;; [unrolled: 1-line block ×14, first 2 shown]
	.quad	0
	.quad	0
	.section	.debug_str,"MS",@progbits,1
.Linfo_string0:
	.asciz	"triton"                        ; string offset=0
.Linfo_string1:
	.asciz	"persistent_matmul.py"          ; string offset=7
.Linfo_string2:
	.asciz	"/root/src/amdgpu-assembly/repos/triton-lang__triton-aot" ; string offset=28
.Linfo_string3:
	.asciz	"matmul_kernel_persistent"      ; string offset=84
	.section	".note.GNU-stack","",@progbits
	.amdgpu_metadata
---
amdhsa.kernels:
  - .args:
      - .address_space:  global
        .offset:         0
        .size:           8
        .value_kind:     global_buffer
      - .address_space:  global
        .offset:         8
        .size:           8
        .value_kind:     global_buffer
      - .address_space:  global
        .offset:         16
        .size:           8
        .value_kind:     global_buffer
      - .offset:         24
        .size:           4
        .value_kind:     by_value
      - .offset:         28
        .size:           4
        .value_kind:     by_value
      - .offset:         32
        .size:           4
        .value_kind:     by_value
      - .offset:         36
        .size:           4
        .value_kind:     by_value
      - .offset:         40
        .size:           4
        .value_kind:     by_value
      - .offset:         44
        .size:           4
        .value_kind:     by_value
      - .offset:         48
        .size:           4
        .value_kind:     by_value
      - .offset:         52
        .size:           4
        .value_kind:     by_value
      - .offset:         56
        .size:           4
        .value_kind:     by_value
      - .address_space:  global
        .offset:         64
        .size:           8
        .value_kind:     global_buffer
      - .address_space:  global
        .offset:         72
        .size:           8
        .value_kind:     global_buffer
    .group_segment_fixed_size: 0
    .kernarg_segment_align: 8
    .kernarg_segment_size: 80
    .max_flat_workgroup_size: 256
    .name:           matmul_kernel_persistent
    .private_segment_fixed_size: 0
    .sgpr_count:     50
    .sgpr_spill_count: 0
    .symbol:         matmul_kernel_persistent.kd
    .uniform_work_group_size: 1
    .uses_dynamic_stack: false
    .vgpr_count:     245
    .vgpr_spill_count: 0
    .wavefront_size: 32
    .workgroup_processor_mode: 1
amdhsa.target:   amdgcn-amd-amdhsa--gfx1100
amdhsa.version:
  - 1
  - 2
...

	.end_amdgpu_metadata
	.section	.debug_line,"",@progbits
.Lline_table_start0:
